;; amdgpu-corpus repo=ROCm/rocFFT kind=compiled arch=gfx906 opt=O3
	.text
	.amdgcn_target "amdgcn-amd-amdhsa--gfx906"
	.amdhsa_code_object_version 6
	.protected	bluestein_single_back_len198_dim1_dp_op_CI_CI ; -- Begin function bluestein_single_back_len198_dim1_dp_op_CI_CI
	.globl	bluestein_single_back_len198_dim1_dp_op_CI_CI
	.p2align	8
	.type	bluestein_single_back_len198_dim1_dp_op_CI_CI,@function
bluestein_single_back_len198_dim1_dp_op_CI_CI: ; @bluestein_single_back_len198_dim1_dp_op_CI_CI
; %bb.0:
	s_mov_b64 s[46:47], s[2:3]
	v_mul_u32_u24_e32 v1, 0xba3, v0
	s_mov_b64 s[44:45], s[0:1]
	s_load_dwordx4 s[0:3], s[4:5], 0x28
	v_lshrrev_b32_e32 v1, 16, v1
	s_add_u32 s44, s44, s7
	v_mad_u64_u32 v[104:105], s[6:7], s6, 5, v[1:2]
	v_mov_b32_e32 v105, 0
	s_addc_u32 s45, s45, 0
	s_waitcnt lgkmcnt(0)
	v_cmp_gt_u64_e32 vcc, s[0:1], v[104:105]
	s_and_saveexec_b64 s[0:1], vcc
	s_cbranch_execz .LBB0_23
; %bb.1:
	s_mov_b32 s0, 0xcccccccd
	v_mul_hi_u32 v2, v104, s0
	v_mul_lo_u16_e32 v1, 22, v1
	s_load_dwordx2 s[14:15], s[4:5], 0x0
	s_load_dwordx2 s[12:13], s[4:5], 0x38
	v_sub_u16_e32 v188, v0, v1
	v_lshrrev_b32_e32 v0, 2, v2
	v_lshl_add_u32 v0, v0, 2, v0
	v_sub_u32_e32 v0, v104, v0
	v_mul_u32_u24_e32 v157, 0xc6, v0
	v_cmp_gt_u16_e32 vcc, 18, v188
	v_lshlrev_b32_e32 v195, 4, v188
	v_lshlrev_b32_e32 v0, 4, v157
	buffer_store_dword v0, off, s[44:47], 0 ; 4-byte Folded Spill
	s_and_saveexec_b64 s[6:7], vcc
	s_cbranch_execz .LBB0_3
; %bb.2:
	s_load_dwordx2 s[0:1], s[4:5], 0x18
	v_lshlrev_b32_e32 v95, 4, v157
	v_lshl_add_u32 v94, v188, 4, v95
	v_add_u32_e32 v95, v95, v195
	s_waitcnt lgkmcnt(0)
	s_load_dwordx4 s[8:11], s[0:1], 0x0
	s_waitcnt lgkmcnt(0)
	v_mad_u64_u32 v[0:1], s[0:1], s10, v104, 0
	v_mad_u64_u32 v[2:3], s[0:1], s8, v188, 0
	;; [unrolled: 1-line block ×4, first 2 shown]
	v_mov_b32_e32 v1, v4
	v_lshlrev_b64 v[0:1], 4, v[0:1]
	v_mov_b32_e32 v3, v5
	v_mov_b32_e32 v6, s3
	v_lshlrev_b64 v[2:3], 4, v[2:3]
	v_add_co_u32_e64 v0, s[0:1], s2, v0
	v_addc_co_u32_e64 v1, s[0:1], v6, v1, s[0:1]
	v_add_co_u32_e64 v16, s[0:1], v0, v2
	v_addc_co_u32_e64 v17, s[0:1], v1, v3, s[0:1]
	s_mul_i32 s0, s9, 0x120
	s_mul_hi_u32 s2, s8, 0x120
	s_add_i32 s2, s2, s0
	s_mul_i32 s3, s8, 0x120
	v_mov_b32_e32 v0, s2
	v_add_co_u32_e64 v18, s[0:1], s3, v16
	v_addc_co_u32_e64 v19, s[0:1], v17, v0, s[0:1]
	global_load_dwordx4 v[0:3], v[16:17], off
	global_load_dwordx4 v[4:7], v[18:19], off
	global_load_dwordx4 v[8:11], v195, s[14:15]
	global_load_dwordx4 v[12:15], v195, s[14:15] offset:288
	v_mov_b32_e32 v16, s2
	v_add_co_u32_e64 v32, s[0:1], s3, v18
	v_addc_co_u32_e64 v33, s[0:1], v19, v16, s[0:1]
	v_add_co_u32_e64 v34, s[0:1], s3, v32
	v_addc_co_u32_e64 v35, s[0:1], v33, v16, s[0:1]
	global_load_dwordx4 v[16:19], v[32:33], off
	global_load_dwordx4 v[20:23], v[34:35], off
	global_load_dwordx4 v[24:27], v195, s[14:15] offset:576
	global_load_dwordx4 v[28:31], v195, s[14:15] offset:864
	v_mov_b32_e32 v32, s2
	v_add_co_u32_e64 v36, s[0:1], s3, v34
	v_addc_co_u32_e64 v37, s[0:1], v35, v32, s[0:1]
	v_mov_b32_e32 v38, s2
	v_add_co_u32_e64 v48, s[0:1], s3, v36
	v_addc_co_u32_e64 v49, s[0:1], v37, v38, s[0:1]
	v_mov_b32_e32 v50, s2
	v_add_co_u32_e64 v52, s[0:1], s3, v48
	global_load_dwordx4 v[32:35], v[36:37], off
	v_addc_co_u32_e64 v53, s[0:1], v49, v50, s[0:1]
	global_load_dwordx4 v[36:39], v[48:49], off
	global_load_dwordx4 v[40:43], v195, s[14:15] offset:1152
	global_load_dwordx4 v[44:47], v195, s[14:15] offset:1440
	v_mov_b32_e32 v54, s2
	v_add_co_u32_e64 v64, s[0:1], s3, v52
	global_load_dwordx4 v[48:51], v[52:53], off
	v_addc_co_u32_e64 v65, s[0:1], v53, v54, s[0:1]
	global_load_dwordx4 v[52:55], v[64:65], off
	global_load_dwordx4 v[56:59], v195, s[14:15] offset:1728
	global_load_dwordx4 v[60:63], v195, s[14:15] offset:2016
	v_mov_b32_e32 v66, s2
	v_add_co_u32_e64 v68, s[0:1], s3, v64
	v_addc_co_u32_e64 v69, s[0:1], v65, v66, s[0:1]
	v_mov_b32_e32 v70, s2
	v_add_co_u32_e64 v80, s[0:1], s3, v68
	global_load_dwordx4 v[64:67], v[68:69], off
	v_addc_co_u32_e64 v81, s[0:1], v69, v70, s[0:1]
	global_load_dwordx4 v[68:71], v[80:81], off
	global_load_dwordx4 v[72:75], v195, s[14:15] offset:2304
	global_load_dwordx4 v[76:79], v195, s[14:15] offset:2592
	v_mov_b32_e32 v82, s2
	v_add_co_u32_e64 v88, s[0:1], s3, v80
	v_addc_co_u32_e64 v89, s[0:1], v81, v82, s[0:1]
	global_load_dwordx4 v[80:83], v195, s[14:15] offset:2880
	global_load_dwordx4 v[84:87], v[88:89], off
	s_waitcnt vmcnt(19)
	v_mul_f64 v[88:89], v[2:3], v[10:11]
	v_mul_f64 v[10:11], v[0:1], v[10:11]
	s_waitcnt vmcnt(18)
	v_mul_f64 v[90:91], v[6:7], v[14:15]
	v_mul_f64 v[14:15], v[4:5], v[14:15]
	v_fma_f64 v[0:1], v[0:1], v[8:9], v[88:89]
	v_fma_f64 v[2:3], v[2:3], v[8:9], -v[10:11]
	s_waitcnt vmcnt(15)
	v_mul_f64 v[92:93], v[18:19], v[26:27]
	v_mul_f64 v[26:27], v[16:17], v[26:27]
	v_fma_f64 v[4:5], v[4:5], v[12:13], v[90:91]
	v_fma_f64 v[6:7], v[6:7], v[12:13], -v[14:15]
	;; [unrolled: 5-line block ×3, first 2 shown]
	ds_write_b128 v94, v[0:3]
	ds_write_b128 v95, v[4:7] offset:288
	ds_write_b128 v95, v[8:11] offset:576
	v_fma_f64 v[0:1], v[20:21], v[28:29], v[12:13]
	s_waitcnt vmcnt(11)
	v_mul_f64 v[16:17], v[34:35], v[42:43]
	v_mul_f64 v[18:19], v[32:33], v[42:43]
	s_waitcnt vmcnt(10)
	v_mul_f64 v[24:25], v[38:39], v[46:47]
	v_mul_f64 v[10:11], v[36:37], v[46:47]
	v_fma_f64 v[2:3], v[22:23], v[28:29], -v[14:15]
	s_waitcnt vmcnt(7)
	v_mul_f64 v[26:27], v[50:51], v[58:59]
	v_mul_f64 v[30:31], v[48:49], v[58:59]
	v_fma_f64 v[4:5], v[32:33], v[40:41], v[16:17]
	v_fma_f64 v[6:7], v[34:35], v[40:41], -v[18:19]
	s_waitcnt vmcnt(6)
	v_mul_f64 v[16:17], v[54:55], v[62:63]
	v_mul_f64 v[18:19], v[52:53], v[62:63]
	v_fma_f64 v[8:9], v[36:37], v[44:45], v[24:25]
	v_fma_f64 v[10:11], v[38:39], v[44:45], -v[10:11]
	v_fma_f64 v[12:13], v[48:49], v[56:57], v[26:27]
	v_fma_f64 v[14:15], v[50:51], v[56:57], -v[30:31]
	s_waitcnt vmcnt(3)
	v_mul_f64 v[20:21], v[66:67], v[74:75]
	v_mul_f64 v[22:23], v[64:65], v[74:75]
	s_waitcnt vmcnt(2)
	v_mul_f64 v[24:25], v[70:71], v[78:79]
	v_mul_f64 v[26:27], v[68:69], v[78:79]
	v_fma_f64 v[16:17], v[52:53], v[60:61], v[16:17]
	v_fma_f64 v[18:19], v[54:55], v[60:61], -v[18:19]
	s_waitcnt vmcnt(0)
	v_mul_f64 v[28:29], v[86:87], v[82:83]
	v_mul_f64 v[30:31], v[84:85], v[82:83]
	v_fma_f64 v[20:21], v[64:65], v[72:73], v[20:21]
	v_fma_f64 v[22:23], v[66:67], v[72:73], -v[22:23]
	v_fma_f64 v[24:25], v[68:69], v[76:77], v[24:25]
	v_fma_f64 v[26:27], v[70:71], v[76:77], -v[26:27]
	;; [unrolled: 2-line block ×3, first 2 shown]
	ds_write_b128 v95, v[0:3] offset:864
	ds_write_b128 v95, v[4:7] offset:1152
	;; [unrolled: 1-line block ×8, first 2 shown]
.LBB0_3:
	s_or_b64 exec, exec, s[6:7]
	s_waitcnt vmcnt(0) lgkmcnt(0)
	s_barrier
	s_waitcnt lgkmcnt(0)
                                        ; implicit-def: $vgpr4_vgpr5
                                        ; implicit-def: $vgpr8_vgpr9
                                        ; implicit-def: $vgpr12_vgpr13
                                        ; implicit-def: $vgpr16_vgpr17
                                        ; implicit-def: $vgpr20_vgpr21
                                        ; implicit-def: $vgpr32_vgpr33
                                        ; implicit-def: $vgpr36_vgpr37
                                        ; implicit-def: $vgpr40_vgpr41
                                        ; implicit-def: $vgpr44_vgpr45
                                        ; implicit-def: $vgpr48_vgpr49
                                        ; implicit-def: $vgpr52_vgpr53
	s_and_saveexec_b64 s[0:1], vcc
	s_cbranch_execz .LBB0_5
; %bb.4:
	v_lshl_add_u32 v0, v157, 4, v195
	ds_read_b128 v[4:7], v0
	ds_read_b128 v[8:11], v0 offset:288
	ds_read_b128 v[12:15], v0 offset:576
	;; [unrolled: 1-line block ×10, first 2 shown]
.LBB0_5:
	s_or_b64 exec, exec, s[0:1]
	s_waitcnt lgkmcnt(0)
	v_add_f64 v[78:79], v[10:11], -v[54:55]
	v_add_f64 v[74:75], v[8:9], -v[52:53]
	s_mov_b32 s2, 0xf8bb580b
	s_mov_b32 s3, 0xbfe14ced
	v_add_f64 v[72:73], v[8:9], v[52:53]
	v_add_f64 v[86:87], v[10:11], v[54:55]
	v_add_f64 v[94:95], v[14:15], -v[50:51]
	v_add_f64 v[92:93], v[12:13], -v[48:49]
	v_mul_f64 v[56:57], v[78:79], s[2:3]
	v_mul_f64 v[60:61], v[74:75], s[2:3]
	s_mov_b32 s0, 0x8764f0ba
	s_mov_b32 s16, 0x8eee2c13
	;; [unrolled: 1-line block ×4, first 2 shown]
	v_add_f64 v[84:85], v[12:13], v[48:49]
	v_add_f64 v[96:97], v[14:15], v[50:51]
	v_mul_f64 v[58:59], v[94:95], s[16:17]
	v_mul_f64 v[62:63], v[92:93], s[16:17]
	v_fma_f64 v[0:1], v[72:73], s[0:1], v[56:57]
	v_fma_f64 v[2:3], v[86:87], s[0:1], -v[60:61]
	v_add_f64 v[111:112], v[18:19], -v[46:47]
	v_add_f64 v[109:110], v[16:17], -v[44:45]
	s_mov_b32 s10, 0xd9c712b6
	s_mov_b32 s22, 0x43842ef
	;; [unrolled: 1-line block ×4, first 2 shown]
	v_fma_f64 v[24:25], v[84:85], s[10:11], v[58:59]
	v_fma_f64 v[26:27], v[96:97], s[10:11], -v[62:63]
	v_add_f64 v[0:1], v[4:5], v[0:1]
	v_add_f64 v[2:3], v[6:7], v[2:3]
	;; [unrolled: 1-line block ×4, first 2 shown]
	v_mul_f64 v[64:65], v[111:112], s[22:23]
	v_mul_f64 v[66:67], v[109:110], s[22:23]
	v_add_f64 v[123:124], v[22:23], -v[42:43]
	v_add_f64 v[121:122], v[20:21], -v[40:41]
	s_mov_b32 s18, 0x640f44db
	s_mov_b32 s24, 0xbb3a28a1
	;; [unrolled: 1-line block ×4, first 2 shown]
	v_add_f64 v[0:1], v[24:25], v[0:1]
	v_add_f64 v[2:3], v[26:27], v[2:3]
	v_fma_f64 v[24:25], v[100:101], s[18:19], v[64:65]
	v_fma_f64 v[26:27], v[117:118], s[18:19], -v[66:67]
	v_add_f64 v[107:108], v[20:21], v[40:41]
	v_add_f64 v[149:150], v[22:23], v[42:43]
	v_mul_f64 v[68:69], v[123:124], s[24:25]
	v_mul_f64 v[70:71], v[121:122], s[24:25]
	;; [unrolled: 1-line block ×6, first 2 shown]
	s_mov_b32 s20, 0x7f775887
	s_mov_b32 s26, 0xfd768dbf
	;; [unrolled: 1-line block ×4, first 2 shown]
	v_add_f64 v[0:1], v[24:25], v[0:1]
	v_add_f64 v[2:3], v[26:27], v[2:3]
	v_fma_f64 v[24:25], v[107:108], s[20:21], v[68:69]
	v_fma_f64 v[26:27], v[149:150], s[20:21], -v[70:71]
	v_fma_f64 v[28:29], v[72:73], s[10:11], v[80:81]
	v_mul_f64 v[88:89], v[94:95], s[24:25]
	v_fma_f64 v[30:31], v[86:87], s[10:11], -v[129:130]
	v_mul_f64 v[98:99], v[92:93], s[24:25]
	v_fma_f64 v[113:114], v[72:73], s[18:19], v[115:116]
	v_mul_f64 v[125:126], v[94:95], s[26:27]
	v_fma_f64 v[127:128], v[86:87], s[18:19], -v[151:152]
	v_mul_f64 v[153:154], v[92:93], s[26:27]
	s_mov_b32 s28, 0x9bcd5057
	s_mov_b32 s29, 0xbfeeb42a
	;; [unrolled: 1-line block ×4, first 2 shown]
	v_add_f64 v[0:1], v[24:25], v[0:1]
	v_add_f64 v[2:3], v[26:27], v[2:3]
	;; [unrolled: 1-line block ×3, first 2 shown]
	v_fma_f64 v[26:27], v[84:85], s[20:21], v[88:89]
	v_add_f64 v[28:29], v[6:7], v[30:31]
	v_fma_f64 v[30:31], v[96:97], s[20:21], -v[98:99]
	v_mul_f64 v[90:91], v[111:112], s[26:27]
	v_mul_f64 v[102:103], v[109:110], s[26:27]
	v_add_f64 v[113:114], v[4:5], v[113:114]
	v_fma_f64 v[133:134], v[84:85], s[28:29], v[125:126]
	v_add_f64 v[135:136], v[6:7], v[127:128]
	v_fma_f64 v[143:144], v[96:97], s[28:29], -v[153:154]
	v_mul_f64 v[127:128], v[111:112], s[34:35]
	v_mul_f64 v[141:142], v[109:110], s[34:35]
	s_mov_b32 s37, 0x3fefac9e
	s_mov_b32 s36, s22
	v_add_f64 v[139:140], v[34:35], -v[38:39]
	v_add_f64 v[137:138], v[32:33], -v[36:37]
	v_add_f64 v[24:25], v[26:27], v[24:25]
	v_add_f64 v[26:27], v[30:31], v[28:29]
	v_fma_f64 v[28:29], v[100:101], s[28:29], v[90:91]
	v_fma_f64 v[30:31], v[117:118], s[28:29], -v[102:103]
	v_mul_f64 v[105:106], v[123:124], s[36:37]
	v_mul_f64 v[119:120], v[121:122], s[36:37]
	v_add_f64 v[147:148], v[133:134], v[113:114]
	v_add_f64 v[143:144], v[143:144], v[135:136]
	v_fma_f64 v[162:163], v[100:101], s[10:11], v[127:128]
	v_fma_f64 v[164:165], v[117:118], s[10:11], -v[141:142]
	v_mul_f64 v[133:134], v[123:124], s[2:3]
	v_mul_f64 v[145:146], v[121:122], s[2:3]
	s_mov_b32 s31, 0xbfd207e7
	s_mov_b32 s30, s26
	;; [unrolled: 1-line block ×4, first 2 shown]
	v_add_f64 v[131:132], v[32:33], v[36:37]
	v_add_f64 v[155:156], v[34:35], v[38:39]
	v_mul_f64 v[76:77], v[139:140], s[30:31]
	v_mul_f64 v[82:83], v[137:138], s[30:31]
	v_add_f64 v[24:25], v[28:29], v[24:25]
	v_add_f64 v[26:27], v[30:31], v[26:27]
	v_fma_f64 v[28:29], v[107:108], s[18:19], v[105:106]
	v_fma_f64 v[30:31], v[149:150], s[18:19], -v[119:120]
	v_mul_f64 v[113:114], v[139:140], s[38:39]
	v_mul_f64 v[135:136], v[137:138], s[38:39]
	v_add_f64 v[162:163], v[162:163], v[147:148]
	v_add_f64 v[164:165], v[164:165], v[143:144]
	v_fma_f64 v[166:167], v[107:108], s[0:1], v[133:134]
	v_fma_f64 v[168:169], v[149:150], s[0:1], -v[145:146]
	v_mul_f64 v[143:144], v[139:140], s[24:25]
	v_mul_f64 v[147:148], v[137:138], s[24:25]
	v_fma_f64 v[158:159], v[131:132], s[28:29], v[76:77]
	v_fma_f64 v[160:161], v[155:156], s[28:29], -v[82:83]
	v_add_f64 v[24:25], v[28:29], v[24:25]
	v_add_f64 v[26:27], v[30:31], v[26:27]
	v_fma_f64 v[28:29], v[131:132], s[0:1], v[113:114]
	v_fma_f64 v[30:31], v[155:156], s[0:1], -v[135:136]
	v_add_f64 v[162:163], v[166:167], v[162:163]
	v_add_f64 v[164:165], v[168:169], v[164:165]
	;; [unrolled: 4-line block ×3, first 2 shown]
	v_add_f64 v[28:29], v[28:29], v[24:25]
	v_add_f64 v[30:31], v[30:31], v[26:27]
	s_load_dwordx2 s[6:7], s[4:5], 0x20
	s_load_dwordx2 s[8:9], s[4:5], 0x8
	v_mul_lo_u16_e32 v221, 11, v188
	v_add_f64 v[24:25], v[166:167], v[162:163]
	v_add_f64 v[26:27], v[168:169], v[164:165]
	s_waitcnt lgkmcnt(0)
	s_barrier
	s_and_saveexec_b64 s[4:5], vcc
	s_cbranch_execz .LBB0_7
; %bb.6:
	v_mul_f64 v[160:161], v[86:87], s[28:29]
	v_mul_f64 v[164:165], v[78:79], s[30:31]
	;; [unrolled: 1-line block ×6, first 2 shown]
	s_mov_b32 s41, 0x3fe82f19
	s_mov_b32 s40, s24
	v_fma_f64 v[235:236], v[74:75], s[26:27], v[160:161]
	v_fma_f64 v[239:240], v[72:73], s[28:29], v[164:165]
	;; [unrolled: 1-line block ×3, first 2 shown]
	v_fma_f64 v[164:165], v[72:73], s[28:29], -v[164:165]
	v_fma_f64 v[243:244], v[92:93], s[2:3], v[233:234]
	v_fma_f64 v[247:248], v[84:85], s[0:1], v[237:238]
	;; [unrolled: 1-line block ×3, first 2 shown]
	v_fma_f64 v[237:238], v[84:85], s[0:1], -v[237:238]
	v_add_f64 v[235:236], v[6:7], v[235:236]
	v_add_f64 v[239:240], v[4:5], v[239:240]
	;; [unrolled: 1-line block ×4, first 2 shown]
	v_mul_f64 v[158:159], v[149:150], s[10:11]
	v_fma_f64 v[241:242], v[109:110], s[40:41], v[229:230]
	v_fma_f64 v[249:250], v[100:101], s[20:21], v[245:246]
	;; [unrolled: 1-line block ×3, first 2 shown]
	v_add_f64 v[235:236], v[243:244], v[235:236]
	v_mul_f64 v[243:244], v[123:124], s[34:35]
	v_add_f64 v[239:240], v[247:248], v[239:240]
	v_add_f64 v[160:161], v[233:234], v[160:161]
	v_fma_f64 v[233:234], v[100:101], s[20:21], -v[245:246]
	v_add_f64 v[164:165], v[237:238], v[164:165]
	v_mul_f64 v[162:163], v[155:156], s[18:19]
	v_fma_f64 v[231:232], v[121:122], s[16:17], v[158:159]
	v_add_f64 v[235:236], v[241:242], v[235:236]
	v_mul_f64 v[237:238], v[139:140], s[22:23]
	v_fma_f64 v[241:242], v[107:108], s[10:11], v[243:244]
	v_add_f64 v[239:240], v[249:250], v[239:240]
	v_fma_f64 v[158:159], v[121:122], s[34:35], v[158:159]
	v_add_f64 v[160:161], v[229:230], v[160:161]
	v_fma_f64 v[229:230], v[107:108], s[10:11], -v[243:244]
	v_add_f64 v[164:165], v[233:234], v[164:165]
	v_mul_f64 v[168:169], v[86:87], s[0:1]
	v_mul_f64 v[172:173], v[86:87], s[10:11]
	;; [unrolled: 1-line block ×3, first 2 shown]
	v_fma_f64 v[233:234], v[137:138], s[36:37], v[162:163]
	v_add_f64 v[231:232], v[231:232], v[235:236]
	v_fma_f64 v[235:236], v[131:132], s[18:19], v[237:238]
	v_add_f64 v[239:240], v[241:242], v[239:240]
	;; [unrolled: 2-line block ×3, first 2 shown]
	v_fma_f64 v[237:238], v[131:132], s[18:19], -v[237:238]
	v_add_f64 v[229:230], v[229:230], v[164:165]
	v_mul_f64 v[86:87], v[86:87], s[20:21]
	v_mul_f64 v[180:181], v[96:97], s[10:11]
	;; [unrolled: 1-line block ×5, first 2 shown]
	v_add_f64 v[164:165], v[162:163], v[241:242]
	v_mul_f64 v[96:97], v[96:97], s[18:19]
	v_add_f64 v[162:163], v[237:238], v[229:230]
	v_fma_f64 v[229:230], v[74:75], s[24:25], v[86:87]
	v_mul_f64 v[197:198], v[117:118], s[18:19]
	v_mul_f64 v[201:202], v[117:118], s[28:29]
	;; [unrolled: 1-line block ×3, first 2 shown]
	v_add_f64 v[160:161], v[233:234], v[231:232]
	v_mul_f64 v[94:95], v[94:95], s[36:37]
	v_fma_f64 v[231:232], v[72:73], s[20:21], v[78:79]
	v_mul_f64 v[117:118], v[117:118], s[0:1]
	v_fma_f64 v[233:234], v[92:93], s[22:23], v[96:97]
	v_fma_f64 v[92:93], v[92:93], s[36:37], v[96:97]
	v_add_f64 v[96:97], v[6:7], v[229:230]
	v_add_f64 v[10:11], v[6:7], v[10:11]
	;; [unrolled: 1-line block ×3, first 2 shown]
	v_mul_f64 v[166:167], v[72:73], s[0:1]
	v_mul_f64 v[170:171], v[72:73], s[10:11]
	;; [unrolled: 1-line block ×6, first 2 shown]
	v_add_f64 v[158:159], v[235:236], v[239:240]
	v_mul_f64 v[149:150], v[149:150], s[28:29]
	v_mul_f64 v[111:112], v[111:112], s[2:3]
	v_fma_f64 v[229:230], v[84:85], s[18:19], v[94:95]
	v_add_f64 v[231:232], v[4:5], v[231:232]
	v_fma_f64 v[235:236], v[109:110], s[38:39], v[117:118]
	v_fma_f64 v[109:110], v[109:110], s[2:3], v[117:118]
	v_fma_f64 v[72:73], v[72:73], s[20:21], -v[78:79]
	v_add_f64 v[78:79], v[92:93], v[96:97]
	v_add_f64 v[10:11], v[10:11], v[14:15]
	;; [unrolled: 1-line block ×3, first 2 shown]
	v_mul_f64 v[178:179], v[84:85], s[10:11]
	v_mul_f64 v[182:183], v[84:85], s[20:21]
	;; [unrolled: 1-line block ×7, first 2 shown]
	v_fma_f64 v[74:75], v[74:75], s[40:41], v[86:87]
	v_fma_f64 v[86:87], v[121:122], s[26:27], v[149:150]
	v_mul_f64 v[92:93], v[123:124], s[30:31]
	v_fma_f64 v[96:97], v[100:101], s[0:1], v[111:112]
	v_add_f64 v[117:118], v[229:230], v[231:232]
	v_fma_f64 v[121:122], v[121:122], s[30:31], v[149:150]
	v_fma_f64 v[84:85], v[84:85], s[18:19], -v[94:95]
	v_add_f64 v[72:73], v[4:5], v[72:73]
	v_add_f64 v[78:79], v[109:110], v[78:79]
	;; [unrolled: 1-line block ×4, first 2 shown]
	v_mul_f64 v[219:220], v[100:101], s[18:19]
	v_mul_f64 v[199:200], v[100:101], s[28:29]
	;; [unrolled: 1-line block ×3, first 2 shown]
	v_fma_f64 v[109:110], v[107:108], s[28:29], v[92:93]
	v_add_f64 v[96:97], v[96:97], v[117:118]
	v_fma_f64 v[117:118], v[137:138], s[34:35], v[155:156]
	v_fma_f64 v[100:101], v[100:101], s[0:1], -v[111:112]
	v_add_f64 v[72:73], v[84:85], v[72:73]
	v_add_f64 v[78:79], v[121:122], v[78:79]
	;; [unrolled: 1-line block ×5, first 2 shown]
	v_mul_f64 v[207:208], v[107:108], s[20:21]
	v_mul_f64 v[211:212], v[107:108], s[18:19]
	;; [unrolled: 1-line block ×3, first 2 shown]
	v_add_f64 v[96:97], v[109:110], v[96:97]
	v_fma_f64 v[92:93], v[107:108], s[28:29], -v[92:93]
	v_add_f64 v[100:101], v[100:101], v[72:73]
	v_add_f64 v[72:73], v[117:118], v[78:79]
	;; [unrolled: 1-line block ×8, first 2 shown]
	v_add_f64 v[32:33], v[166:167], -v[56:57]
	v_add_f64 v[111:112], v[174:175], -v[115:116]
	;; [unrolled: 1-line block ×3, first 2 shown]
	v_add_f64 v[92:93], v[92:93], v[100:101]
	v_add_f64 v[100:101], v[141:142], v[205:206]
	;; [unrolled: 1-line block ×10, first 2 shown]
	v_add_f64 v[58:59], v[178:179], -v[58:59]
	v_add_f64 v[32:33], v[4:5], v[32:33]
	v_add_f64 v[109:110], v[4:5], v[111:112]
	v_add_f64 v[56:57], v[182:183], -v[88:89]
	v_add_f64 v[4:5], v[4:5], v[34:35]
	v_add_f64 v[14:15], v[191:192], -v[125:126]
	v_add_f64 v[12:13], v[145:146], v[217:218]
	v_add_f64 v[78:79], v[100:101], v[78:79]
	v_add_f64 v[100:101], v[102:103], v[201:202]
	v_add_f64 v[98:99], v[98:99], v[107:108]
	v_add_f64 v[10:11], v[10:11], v[42:43]
	v_add_f64 v[8:9], v[8:9], v[40:41]
	v_add_f64 v[36:37], v[66:67], v[197:198]
	v_add_f64 v[6:7], v[62:63], v[6:7]
	v_add_f64 v[38:39], v[219:220], -v[64:65]
	v_add_f64 v[32:33], v[58:59], v[32:33]
	v_add_f64 v[34:35], v[199:200], -v[90:91]
	v_add_f64 v[4:5], v[56:57], v[4:5]
	;; [unrolled: 2-line block ×3, first 2 shown]
	v_add_f64 v[74:75], v[233:234], v[74:75]
	v_add_f64 v[12:13], v[12:13], v[78:79]
	;; [unrolled: 1-line block ×6, first 2 shown]
	v_mul_f64 v[184:185], v[131:132], s[28:29]
	v_add_f64 v[42:43], v[70:71], v[209:210]
	v_add_f64 v[6:7], v[36:37], v[6:7]
	v_add_f64 v[36:37], v[207:208], -v[68:69]
	v_add_f64 v[32:33], v[38:39], v[32:33]
	v_mul_f64 v[223:224], v[131:132], s[0:1]
	v_add_f64 v[40:41], v[211:212], -v[105:106]
	v_add_f64 v[4:5], v[34:35], v[4:5]
	v_mul_f64 v[227:228], v[131:132], s[20:21]
	v_add_f64 v[22:23], v[215:216], -v[133:134]
	v_add_f64 v[14:15], v[18:19], v[14:15]
	v_add_f64 v[74:75], v[235:236], v[74:75]
	v_mul_f64 v[94:95], v[139:140], s[34:35]
	v_add_f64 v[16:17], v[147:148], v[243:244]
	v_add_f64 v[18:19], v[135:136], v[225:226]
	;; [unrolled: 1-line block ×7, first 2 shown]
	v_add_f64 v[44:45], v[184:185], -v[76:77]
	v_add_f64 v[32:33], v[36:37], v[32:33]
	v_add_f64 v[34:35], v[223:224], -v[113:114]
	v_add_f64 v[4:5], v[40:41], v[4:5]
	;; [unrolled: 2-line block ×3, first 2 shown]
	v_add_f64 v[74:75], v[86:87], v[74:75]
	v_fma_f64 v[86:87], v[131:132], s[10:11], v[94:95]
	v_fma_f64 v[94:95], v[131:132], s[10:11], -v[94:95]
	v_fma_f64 v[84:85], v[137:138], s[16:17], v[155:156]
	v_add_f64 v[6:7], v[16:17], v[12:13]
	v_add_f64 v[10:11], v[18:19], v[78:79]
	;; [unrolled: 1-line block ×11, first 2 shown]
	v_add_lshl_u32 v32, v157, v221, 4
	ds_write_b128 v32, v[16:19]
	ds_write_b128 v32, v[12:15] offset:16
	ds_write_b128 v32, v[8:11] offset:32
	;; [unrolled: 1-line block ×10, first 2 shown]
.LBB0_7:
	s_or_b64 exec, exec, s[4:5]
	v_add_lshl_u32 v189, v157, v188, 4
	s_waitcnt lgkmcnt(0)
	s_barrier
	ds_read_b128 v[32:35], v189
	ds_read_b128 v[36:39], v189 offset:352
	ds_read_b128 v[52:55], v189 offset:1584
	;; [unrolled: 1-line block ×7, first 2 shown]
	v_cmp_gt_u16_e64 s[0:1], 11, v188
	s_and_saveexec_b64 s[2:3], s[0:1]
	s_cbranch_execz .LBB0_9
; %bb.8:
	ds_read_b128 v[24:27], v189 offset:1408
	ds_read_b128 v[28:31], v189 offset:2992
.LBB0_9:
	s_or_b64 exec, exec, s[2:3]
	v_add_co_u32_e64 v4, s[2:3], -11, v188
	v_addc_co_u32_e64 v5, s[2:3], 0, -1, s[2:3]
	v_cndmask_b32_e64 v66, v5, 0, s[0:1]
	v_cndmask_b32_e64 v65, v4, v188, s[0:1]
	v_lshlrev_b64 v[4:5], 4, v[65:66]
	v_mov_b32_e32 v6, s9
	v_add_co_u32_e64 v4, s[2:3], s8, v4
	v_addc_co_u32_e64 v5, s[2:3], v6, v5, s[2:3]
	v_add_u16_e32 v6, 22, v188
	s_movk_i32 s2, 0x75
	v_mul_lo_u16_sdwa v7, v6, s2 dst_sel:DWORD dst_unused:UNUSED_PAD src0_sel:BYTE_0 src1_sel:DWORD
	v_sub_u16_sdwa v8, v6, v7 dst_sel:DWORD dst_unused:UNUSED_PAD src0_sel:DWORD src1_sel:BYTE_1
	v_lshrrev_b16_e32 v8, 1, v8
	v_and_b32_e32 v8, 0x7f, v8
	v_add_u16_sdwa v7, v8, v7 dst_sel:DWORD dst_unused:UNUSED_PAD src0_sel:DWORD src1_sel:BYTE_1
	v_lshrrev_b16_e32 v66, 3, v7
	v_mul_lo_u16_e32 v7, 11, v66
	v_sub_u16_e32 v67, v6, v7
	v_mov_b32_e32 v6, 4
	v_lshlrev_b32_sdwa v7, v6, v67 dst_sel:DWORD dst_unused:UNUSED_PAD src0_sel:DWORD src1_sel:BYTE_0
	global_load_dwordx4 v[12:15], v[4:5], off
	global_load_dwordx4 v[8:11], v7, s[8:9]
	v_add_u16_e32 v4, 44, v188
	v_mul_lo_u16_sdwa v5, v4, s2 dst_sel:DWORD dst_unused:UNUSED_PAD src0_sel:BYTE_0 src1_sel:DWORD
	v_sub_u16_sdwa v7, v4, v5 dst_sel:DWORD dst_unused:UNUSED_PAD src0_sel:DWORD src1_sel:BYTE_1
	v_lshrrev_b16_e32 v7, 1, v7
	v_and_b32_e32 v7, 0x7f, v7
	v_add_u16_sdwa v5, v7, v5 dst_sel:DWORD dst_unused:UNUSED_PAD src0_sel:DWORD src1_sel:BYTE_1
	v_lshrrev_b16_e32 v68, 3, v5
	v_mul_lo_u16_e32 v5, 11, v68
	v_sub_u16_e32 v69, v4, v5
	v_add_u16_e32 v5, 0x42, v188
	v_mul_lo_u16_sdwa v7, v5, s2 dst_sel:DWORD dst_unused:UNUSED_PAD src0_sel:BYTE_0 src1_sel:DWORD
	v_sub_u16_sdwa v16, v5, v7 dst_sel:DWORD dst_unused:UNUSED_PAD src0_sel:DWORD src1_sel:BYTE_1
	v_lshrrev_b16_e32 v16, 1, v16
	v_and_b32_e32 v16, 0x7f, v16
	v_add_u16_sdwa v7, v16, v7 dst_sel:DWORD dst_unused:UNUSED_PAD src0_sel:DWORD src1_sel:BYTE_1
	v_lshrrev_b16_e32 v70, 3, v7
	v_mul_lo_u16_e32 v7, 11, v70
	v_lshlrev_b32_sdwa v4, v6, v69 dst_sel:DWORD dst_unused:UNUSED_PAD src0_sel:DWORD src1_sel:BYTE_0
	v_sub_u16_e32 v71, v5, v7
	v_lshlrev_b32_sdwa v5, v6, v71 dst_sel:DWORD dst_unused:UNUSED_PAD src0_sel:DWORD src1_sel:BYTE_0
	global_load_dwordx4 v[20:23], v4, s[8:9]
	global_load_dwordx4 v[16:19], v5, s[8:9]
	v_add_u16_e32 v4, 0x58, v188
	v_mul_lo_u16_sdwa v5, v4, s2 dst_sel:DWORD dst_unused:UNUSED_PAD src0_sel:BYTE_0 src1_sel:DWORD
	v_sub_u16_sdwa v6, v4, v5 dst_sel:DWORD dst_unused:UNUSED_PAD src0_sel:DWORD src1_sel:BYTE_1
	v_lshrrev_b16_e32 v6, 1, v6
	v_and_b32_e32 v6, 0x7f, v6
	v_add_u16_sdwa v5, v6, v5 dst_sel:DWORD dst_unused:UNUSED_PAD src0_sel:DWORD src1_sel:BYTE_1
	v_lshrrev_b16_e32 v5, 3, v5
	v_mul_lo_u16_e32 v5, 11, v5
	v_sub_u16_e32 v185, v4, v5
	v_and_b32_e32 v64, 0xff, v185
	v_lshlrev_b32_e32 v4, 4, v64
	global_load_dwordx4 v[4:7], v4, s[8:9]
	v_cmp_lt_u16_e64 s[2:3], 10, v188
	v_cndmask_b32_e64 v72, 0, 22, s[2:3]
	v_add_u32_e32 v65, v65, v72
	v_add_lshl_u32 v186, v157, v65, 4
	v_mul_u32_u24_e32 v65, 22, v68
	v_mul_u32_u24_e32 v68, 22, v70
	v_mad_legacy_u16 v66, v66, 22, v67
	v_add_u32_sdwa v65, v65, v69 dst_sel:DWORD dst_unused:UNUSED_PAD src0_sel:DWORD src1_sel:BYTE_0
	v_add_u32_sdwa v67, v68, v71 dst_sel:DWORD dst_unused:UNUSED_PAD src0_sel:DWORD src1_sel:BYTE_0
	v_and_b32_e32 v66, 0xff, v66
	v_add_lshl_u32 v191, v157, v65, 4
	v_add_lshl_u32 v187, v157, v67, 4
	v_add_lshl_u32 v192, v157, v66, 4
	s_load_dwordx4 s[4:7], s[6:7], 0x0
	s_waitcnt vmcnt(0) lgkmcnt(0)
	s_barrier
	v_mul_f64 v[65:66], v[54:55], v[14:15]
	v_mul_f64 v[67:68], v[52:53], v[14:15]
	;; [unrolled: 1-line block ×4, first 2 shown]
	v_fma_f64 v[52:53], v[52:53], v[12:13], -v[65:66]
	v_fma_f64 v[54:55], v[54:55], v[12:13], v[67:68]
	v_fma_f64 v[48:49], v[48:49], v[8:9], -v[69:70]
	v_fma_f64 v[50:51], v[50:51], v[8:9], v[71:72]
	v_add_f64 v[48:49], v[36:37], -v[48:49]
	v_add_f64 v[50:51], v[38:39], -v[50:51]
	v_mul_f64 v[73:74], v[62:63], v[22:23]
	v_mul_f64 v[75:76], v[60:61], v[22:23]
	;; [unrolled: 1-line block ×4, first 2 shown]
	v_fma_f64 v[36:37], v[36:37], 2.0, -v[48:49]
	v_fma_f64 v[38:39], v[38:39], 2.0, -v[50:51]
	v_fma_f64 v[60:61], v[60:61], v[20:21], -v[73:74]
	v_fma_f64 v[62:63], v[62:63], v[20:21], v[75:76]
	v_fma_f64 v[56:57], v[56:57], v[16:17], -v[77:78]
	v_fma_f64 v[58:59], v[58:59], v[16:17], v[79:80]
	v_mul_f64 v[81:82], v[30:31], v[6:7]
	v_mul_f64 v[83:84], v[28:29], v[6:7]
	v_fma_f64 v[65:66], v[28:29], v[4:5], -v[81:82]
	v_fma_f64 v[67:68], v[30:31], v[4:5], v[83:84]
	v_add_f64 v[28:29], v[32:33], -v[52:53]
	v_add_f64 v[30:31], v[34:35], -v[54:55]
	;; [unrolled: 1-line block ×8, first 2 shown]
	v_fma_f64 v[32:33], v[32:33], 2.0, -v[28:29]
	v_fma_f64 v[34:35], v[34:35], 2.0, -v[30:31]
	;; [unrolled: 1-line block ×6, first 2 shown]
	ds_write_b128 v186, v[28:31] offset:176
	ds_write_b128 v186, v[32:35]
	ds_write_b128 v192, v[48:51] offset:176
	ds_write_b128 v192, v[36:39]
	ds_write_b128 v191, v[40:43]
	ds_write_b128 v191, v[52:55] offset:176
	ds_write_b128 v187, v[44:47]
	ds_write_b128 v187, v[60:63] offset:176
	s_and_saveexec_b64 s[2:3], s[0:1]
	s_cbranch_execz .LBB0_11
; %bb.10:
	v_fma_f64 v[26:27], v[26:27], 2.0, -v[58:59]
	v_fma_f64 v[24:25], v[24:25], 2.0, -v[56:57]
	v_add_lshl_u32 v28, v157, v64, 4
	ds_write_b128 v28, v[24:27] offset:2816
	ds_write_b128 v28, v[56:59] offset:2992
.LBB0_11:
	s_or_b64 exec, exec, s[2:3]
	v_lshlrev_b32_e32 v60, 7, v188
	s_waitcnt lgkmcnt(0)
	s_barrier
	global_load_dwordx4 v[36:39], v60, s[8:9] offset:176
	global_load_dwordx4 v[32:35], v60, s[8:9] offset:192
	;; [unrolled: 1-line block ×8, first 2 shown]
	ds_read_b128 v[60:63], v189
	ds_read_b128 v[64:67], v189 offset:352
	ds_read_b128 v[68:71], v189 offset:704
	;; [unrolled: 1-line block ×8, first 2 shown]
	s_mov_b32 s24, 0xa2cf5039
	s_mov_b32 s11, 0x3fe491b7
	;; [unrolled: 1-line block ×16, first 2 shown]
	s_waitcnt vmcnt(7) lgkmcnt(7)
	v_mul_f64 v[96:97], v[66:67], v[38:39]
	v_mul_f64 v[98:99], v[64:65], v[38:39]
	s_waitcnt vmcnt(6) lgkmcnt(6)
	v_mul_f64 v[100:101], v[70:71], v[34:35]
	v_mul_f64 v[102:103], v[68:69], v[34:35]
	s_waitcnt vmcnt(5) lgkmcnt(5)
	v_mul_f64 v[107:108], v[72:73], v[30:31]
	s_waitcnt vmcnt(4) lgkmcnt(4)
	v_mul_f64 v[111:112], v[76:77], v[26:27]
	s_waitcnt vmcnt(3) lgkmcnt(3)
	v_mul_f64 v[115:116], v[80:81], v[46:47]
	s_waitcnt vmcnt(0) lgkmcnt(0)
	v_mul_f64 v[125:126], v[94:95], v[54:55]
	v_mul_f64 v[127:128], v[92:93], v[54:55]
	;; [unrolled: 1-line block ×5, first 2 shown]
	v_fma_f64 v[64:65], v[64:65], v[36:37], -v[96:97]
	v_fma_f64 v[66:67], v[66:67], v[36:37], v[98:99]
	v_mul_f64 v[105:106], v[74:75], v[30:31]
	v_fma_f64 v[92:93], v[92:93], v[52:53], -v[125:126]
	v_fma_f64 v[94:95], v[94:95], v[52:53], v[127:128]
	v_mul_f64 v[109:110], v[78:79], v[26:27]
	v_mul_f64 v[113:114], v[82:83], v[46:47]
	;; [unrolled: 1-line block ×3, first 2 shown]
	v_fma_f64 v[68:69], v[68:69], v[32:33], -v[100:101]
	v_fma_f64 v[70:71], v[70:71], v[32:33], v[102:103]
	v_fma_f64 v[74:75], v[74:75], v[28:29], v[107:108]
	;; [unrolled: 1-line block ×3, first 2 shown]
	v_fma_f64 v[88:89], v[88:89], v[48:49], -v[121:122]
	v_fma_f64 v[90:91], v[90:91], v[48:49], v[123:124]
	v_fma_f64 v[86:87], v[86:87], v[40:41], v[119:120]
	;; [unrolled: 1-line block ×3, first 2 shown]
	v_add_f64 v[96:97], v[64:65], v[92:93]
	v_add_f64 v[98:99], v[66:67], v[94:95]
	v_add_f64 v[92:93], v[64:65], -v[92:93]
	v_add_f64 v[94:95], v[66:67], -v[94:95]
	v_fma_f64 v[72:73], v[72:73], v[28:29], -v[105:106]
	v_fma_f64 v[76:77], v[76:77], v[24:25], -v[109:110]
	;; [unrolled: 1-line block ×4, first 2 shown]
	v_add_f64 v[100:101], v[68:69], v[88:89]
	v_add_f64 v[102:103], v[70:71], v[90:91]
	;; [unrolled: 1-line block ×3, first 2 shown]
	v_add_f64 v[64:65], v[68:69], -v[88:89]
	v_add_f64 v[66:67], v[70:71], -v[90:91]
	;; [unrolled: 1-line block ×4, first 2 shown]
	v_mul_f64 v[88:89], v[92:93], s[10:11]
	v_mul_f64 v[90:91], v[94:95], s[10:11]
	v_fma_f64 v[109:110], v[96:97], s[24:25], v[60:61]
	v_fma_f64 v[111:112], v[98:99], s[24:25], v[62:63]
	s_mov_b32 s11, 0xbfe491b7
	v_add_f64 v[105:106], v[72:73], v[84:85]
	v_add_f64 v[68:69], v[72:73], -v[84:85]
	v_add_f64 v[72:73], v[76:77], -v[80:81]
	v_add_f64 v[74:75], v[76:77], v[80:81]
	v_mul_f64 v[139:140], v[86:87], s[10:11]
	v_fma_f64 v[88:89], v[64:65], s[16:17], v[88:89]
	v_fma_f64 v[90:91], v[66:67], s[16:17], v[90:91]
	;; [unrolled: 1-line block ×4, first 2 shown]
	v_add_f64 v[84:85], v[78:79], v[82:83]
	v_add_f64 v[125:126], v[100:101], v[96:97]
	v_fma_f64 v[113:114], v[74:75], s[24:25], v[60:61]
	v_add_f64 v[127:128], v[102:103], v[98:99]
	v_mul_f64 v[129:130], v[72:73], s[16:17]
	v_fma_f64 v[133:134], v[100:101], s[24:25], v[60:61]
	v_fma_f64 v[139:140], v[94:95], s[16:17], v[139:140]
	;; [unrolled: 1-line block ×4, first 2 shown]
	v_fma_f64 v[109:110], v[105:106], -0.5, v[109:110]
	v_fma_f64 v[111:112], v[107:108], -0.5, v[111:112]
	v_add_f64 v[117:118], v[72:73], v[92:93]
	v_add_f64 v[119:120], v[86:87], v[94:95]
	v_mul_f64 v[131:132], v[86:87], s[16:17]
	v_mul_f64 v[137:138], v[72:73], s[10:11]
	v_fma_f64 v[113:114], v[96:97], s[20:21], v[113:114]
	v_add_f64 v[141:142], v[74:75], v[125:126]
	v_fma_f64 v[129:130], v[64:65], s[10:11], -v[129:130]
	v_fma_f64 v[139:140], v[70:71], s[22:23], v[139:140]
	v_fma_f64 v[88:89], v[72:73], s[8:9], v[88:89]
	;; [unrolled: 1-line block ×5, first 2 shown]
	v_add_f64 v[109:110], v[107:108], v[127:128]
	v_fma_f64 v[74:75], v[74:75], s[20:21], v[133:134]
	v_add_f64 v[121:122], v[60:61], v[105:106]
	v_add_f64 v[119:120], v[119:120], -v[66:67]
	v_fma_f64 v[131:132], v[66:67], s[10:11], -v[131:132]
	v_add_f64 v[125:126], v[105:106], v[125:126]
	v_fma_f64 v[113:114], v[105:106], -0.5, v[113:114]
	v_fma_f64 v[111:112], v[66:67], s[8:9], v[139:140]
	v_add_f64 v[66:67], v[90:91], -v[88:89]
	v_fma_f64 v[90:91], v[68:69], s[2:3], v[129:130]
	v_fma_f64 v[105:106], v[105:106], -0.5, v[74:75]
	v_add_f64 v[78:79], v[78:79], v[109:110]
	v_fma_f64 v[137:138], v[92:93], s[16:17], v[137:138]
	v_fma_f64 v[115:116], v[84:85], s[24:25], v[62:63]
	v_add_f64 v[123:124], v[62:63], v[107:108]
	v_fma_f64 v[135:136], v[102:103], s[24:25], v[62:63]
	v_add_f64 v[117:118], v[117:118], -v[64:65]
	v_fma_f64 v[90:91], v[92:93], s[8:9], v[90:91]
	v_fma_f64 v[92:93], v[96:97], s[18:19], v[105:106]
	v_add_f64 v[96:97], v[82:83], v[78:79]
	v_fma_f64 v[137:138], v[68:69], s[22:23], v[137:138]
	v_fma_f64 v[115:116], v[98:99], s[20:21], v[115:116]
	;; [unrolled: 1-line block ×3, first 2 shown]
	v_fma_f64 v[74:75], v[88:89], 2.0, v[66:67]
	v_add_f64 v[76:77], v[76:77], v[125:126]
	v_fma_f64 v[88:89], v[141:142], -0.5, v[121:122]
	v_add_f64 v[62:63], v[62:63], v[96:97]
	buffer_load_dword v96, off, s[44:47], 0 ; 4-byte Folded Reload
	v_fma_f64 v[115:116], v[107:108], -0.5, v[115:116]
	v_fma_f64 v[113:114], v[64:65], s[8:9], v[137:138]
	v_add_f64 v[64:65], v[72:73], v[86:87]
	v_fma_f64 v[86:87], v[84:85], s[20:21], v[135:136]
	v_add_f64 v[84:85], v[84:85], v[127:128]
	v_add_f64 v[68:69], v[111:112], v[100:101]
	v_fma_f64 v[102:103], v[102:103], s[18:19], v[115:116]
	v_fma_f64 v[115:116], v[70:71], s[2:3], v[131:132]
	v_fma_f64 v[72:73], v[72:73], -2.0, v[64:65]
	v_fma_f64 v[86:87], v[107:108], -0.5, v[86:87]
	;; [unrolled: 1-line block ×3, first 2 shown]
	v_add_f64 v[70:71], v[102:103], -v[113:114]
	v_fma_f64 v[100:101], v[94:95], s[8:9], v[115:116]
	v_add_f64 v[94:95], v[80:81], v[76:77]
	v_fma_f64 v[86:87], v[98:99], s[18:19], v[86:87]
	v_mul_f64 v[98:99], v[117:118], s[2:3]
	v_mul_f64 v[102:103], v[119:120], s[2:3]
	v_fma_f64 v[76:77], v[119:120], s[2:3], v[88:89]
	v_fma_f64 v[78:79], v[117:118], s[22:23], v[84:85]
	v_add_f64 v[80:81], v[100:101], v[92:93]
	v_add_f64 v[60:61], v[60:61], v[94:95]
	v_add_f64 v[82:83], v[86:87], -v[90:91]
	v_fma_f64 v[92:93], v[111:112], -2.0, v[68:69]
	v_fma_f64 v[94:95], v[113:114], 2.0, v[70:71]
	v_fma_f64 v[84:85], v[102:103], -2.0, v[76:77]
	v_fma_f64 v[86:87], v[98:99], 2.0, v[78:79]
	;; [unrolled: 2-line block ×3, first 2 shown]
	s_waitcnt vmcnt(0)
	v_lshl_add_u32 v190, v188, 4, v96
	ds_write_b128 v190, v[60:63]
	ds_write_b128 v190, v[64:67] offset:352
	ds_write_b128 v190, v[68:71] offset:704
	;; [unrolled: 1-line block ×8, first 2 shown]
	s_waitcnt lgkmcnt(0)
	s_barrier
	s_and_saveexec_b64 s[2:3], vcc
	s_cbranch_execz .LBB0_13
; %bb.12:
	global_load_dwordx4 v[96:99], v195, s[14:15] offset:3168
	s_add_u32 s8, s14, 0xc60
	s_addc_u32 s9, s15, 0
	global_load_dwordx4 v[100:103], v195, s[8:9] offset:288
	global_load_dwordx4 v[105:108], v195, s[8:9] offset:576
	;; [unrolled: 1-line block ×10, first 2 shown]
	ds_read_b128 v[141:144], v190
	ds_read_b128 v[145:148], v190 offset:288
	ds_read_b128 v[149:152], v190 offset:576
	ds_read_b128 v[153:156], v190 offset:864
	ds_read_b128 v[157:160], v190 offset:1152
	ds_read_b128 v[161:164], v190 offset:1440
	ds_read_b128 v[165:168], v190 offset:1728
	ds_read_b128 v[169:172], v190 offset:2016
	ds_read_b128 v[173:176], v190 offset:2304
	ds_read_b128 v[177:180], v190 offset:2592
	ds_read_b128 v[181:184], v190 offset:2880
	s_waitcnt vmcnt(9) lgkmcnt(9)
	v_mul_f64 v[198:199], v[147:148], v[102:103]
	v_mul_f64 v[102:103], v[145:146], v[102:103]
	s_waitcnt vmcnt(8) lgkmcnt(8)
	v_mul_f64 v[200:201], v[151:152], v[107:108]
	v_mul_f64 v[107:108], v[149:150], v[107:108]
	;; [unrolled: 3-line block ×3, first 2 shown]
	v_mul_f64 v[196:197], v[143:144], v[98:99]
	v_mul_f64 v[98:99], v[141:142], v[98:99]
	s_waitcnt vmcnt(6) lgkmcnt(6)
	v_mul_f64 v[204:205], v[159:160], v[115:116]
	v_mul_f64 v[115:116], v[157:158], v[115:116]
	s_waitcnt vmcnt(5) lgkmcnt(5)
	;; [unrolled: 3-line block ×7, first 2 shown]
	v_mul_f64 v[216:217], v[183:184], v[139:140]
	v_mul_f64 v[218:219], v[181:182], v[139:140]
	v_fma_f64 v[139:140], v[141:142], v[96:97], -v[196:197]
	v_fma_f64 v[141:142], v[143:144], v[96:97], v[98:99]
	v_fma_f64 v[96:97], v[145:146], v[100:101], -v[198:199]
	v_fma_f64 v[98:99], v[147:148], v[100:101], v[102:103]
	;; [unrolled: 2-line block ×11, first 2 shown]
	ds_write_b128 v190, v[139:142]
	ds_write_b128 v190, v[96:99] offset:288
	ds_write_b128 v190, v[100:103] offset:576
	;; [unrolled: 1-line block ×10, first 2 shown]
.LBB0_13:
	s_or_b64 exec, exec, s[2:3]
	s_waitcnt lgkmcnt(0)
	s_barrier
	s_and_saveexec_b64 s[2:3], vcc
	s_cbranch_execz .LBB0_15
; %bb.14:
	ds_read_b128 v[60:63], v190
	ds_read_b128 v[64:67], v190 offset:288
	ds_read_b128 v[68:71], v190 offset:576
	;; [unrolled: 1-line block ×10, first 2 shown]
.LBB0_15:
	s_or_b64 exec, exec, s[2:3]
	s_waitcnt lgkmcnt(0)
	v_add_f64 v[109:110], v[66:67], -v[2:3]
	v_add_f64 v[107:108], v[66:67], v[2:3]
	s_mov_b32 s2, 0xd9c712b6
	s_mov_b32 s10, 0x8eee2c13
	;; [unrolled: 1-line block ×4, first 2 shown]
	v_add_f64 v[105:106], v[64:65], v[0:1]
	v_add_f64 v[129:130], v[64:65], -v[0:1]
	v_mul_f64 v[141:142], v[109:110], s[10:11]
	v_mul_f64 v[149:150], v[107:108], s[2:3]
	v_add_f64 v[115:116], v[70:71], -v[58:59]
	v_add_f64 v[113:114], v[70:71], v[58:59]
	s_mov_b32 s8, 0x640f44db
	s_mov_b32 s16, 0x43842ef
	;; [unrolled: 1-line block ×8, first 2 shown]
	v_mul_f64 v[159:160], v[109:110], s[16:17]
	v_fma_f64 v[96:97], v[105:106], s[2:3], -v[141:142]
	v_fma_f64 v[98:99], v[129:130], s[10:11], v[149:150]
	v_mul_f64 v[161:162], v[107:108], s[8:9]
	v_add_f64 v[111:112], v[68:69], v[56:57]
	v_add_f64 v[121:122], v[68:69], -v[56:57]
	v_mul_f64 v[147:148], v[115:116], s[22:23]
	v_mul_f64 v[157:158], v[113:114], s[18:19]
	v_add_f64 v[123:124], v[78:79], -v[74:75]
	v_add_f64 v[119:120], v[78:79], v[74:75]
	s_mov_b32 s20, 0x9bcd5057
	s_mov_b32 s21, 0xbfeeb42a
	;; [unrolled: 1-line block ×4, first 2 shown]
	v_add_f64 v[96:97], v[60:61], v[96:97]
	v_add_f64 v[98:99], v[62:63], v[98:99]
	v_fma_f64 v[100:101], v[105:106], s[8:9], -v[159:160]
	v_fma_f64 v[102:103], v[129:130], s[16:17], v[161:162]
	v_fma_f64 v[125:126], v[111:112], s[18:19], -v[147:148]
	v_fma_f64 v[127:128], v[121:122], s[22:23], v[157:158]
	v_mul_f64 v[167:168], v[115:116], s[26:27]
	v_mul_f64 v[173:174], v[113:114], s[20:21]
	v_add_f64 v[117:118], v[76:77], v[72:73]
	v_add_f64 v[131:132], v[76:77], -v[72:73]
	v_mul_f64 v[204:205], v[123:124], s[26:27]
	v_mul_f64 v[163:164], v[119:120], s[20:21]
	s_mov_b32 s34, s10
	v_add_f64 v[100:101], v[60:61], v[100:101]
	v_add_f64 v[102:103], v[62:63], v[102:103]
	;; [unrolled: 1-line block ×4, first 2 shown]
	v_fma_f64 v[125:126], v[111:112], s[20:21], -v[167:168]
	v_fma_f64 v[127:128], v[121:122], s[26:27], v[173:174]
	v_fma_f64 v[135:136], v[117:118], s[20:21], -v[204:205]
	v_fma_f64 v[137:138], v[131:132], s[26:27], v[163:164]
	v_mul_f64 v[169:170], v[123:124], s[34:35]
	v_mul_f64 v[175:176], v[119:120], s[2:3]
	s_mov_b32 s28, 0x8764f0ba
	s_mov_b32 s30, 0xf8bb580b
	v_add_f64 v[100:101], v[125:126], v[100:101]
	v_add_f64 v[102:103], v[127:128], v[102:103]
	v_add_f64 v[96:97], v[135:136], v[96:97]
	v_add_f64 v[98:99], v[137:138], v[98:99]
	v_add_f64 v[135:136], v[82:83], -v[94:95]
	v_add_f64 v[127:128], v[82:83], v[94:95]
	v_fma_f64 v[137:138], v[117:118], s[2:3], -v[169:170]
	s_mov_b32 s36, s16
	s_mov_b32 s29, 0x3feaeb8c
	;; [unrolled: 1-line block ×3, first 2 shown]
	v_fma_f64 v[139:140], v[131:132], s[34:35], v[175:176]
	v_add_f64 v[125:126], v[80:81], v[92:93]
	v_add_f64 v[143:144], v[80:81], -v[92:93]
	v_mul_f64 v[145:146], v[135:136], s[36:37]
	v_mul_f64 v[165:166], v[127:128], s[8:9]
	;; [unrolled: 1-line block ×4, first 2 shown]
	v_add_f64 v[100:101], v[137:138], v[100:101]
	v_add_f64 v[151:152], v[90:91], -v[86:87]
	v_add_f64 v[137:138], v[90:91], v[86:87]
	s_mov_b32 s38, s30
	v_add_f64 v[102:103], v[139:140], v[102:103]
	v_fma_f64 v[196:197], v[125:126], s[8:9], -v[145:146]
	v_fma_f64 v[198:199], v[143:144], s[36:37], v[165:166]
	v_fma_f64 v[200:201], v[125:126], s[28:29], -v[177:178]
	v_fma_f64 v[202:203], v[143:144], s[30:31], v[181:182]
	v_add_f64 v[139:140], v[88:89], v[84:85]
	v_add_f64 v[153:154], v[88:89], -v[84:85]
	v_mul_f64 v[155:156], v[151:152], s[38:39]
	v_mul_f64 v[171:172], v[137:138], s[28:29]
	v_mul_f64 v[179:180], v[151:152], s[22:23]
	v_mul_f64 v[183:184], v[137:138], s[18:19]
	v_add_f64 v[96:97], v[196:197], v[96:97]
	v_add_f64 v[98:99], v[198:199], v[98:99]
	;; [unrolled: 1-line block ×4, first 2 shown]
	v_fma_f64 v[100:101], v[139:140], s[28:29], -v[155:156]
	v_fma_f64 v[102:103], v[153:154], s[38:39], v[171:172]
	v_fma_f64 v[200:201], v[139:140], s[18:19], -v[179:180]
	v_fma_f64 v[202:203], v[153:154], s[22:23], v[183:184]
	s_barrier
	v_add_f64 v[100:101], v[100:101], v[96:97]
	v_add_f64 v[102:103], v[102:103], v[98:99]
	;; [unrolled: 1-line block ×4, first 2 shown]
	s_and_saveexec_b64 s[24:25], vcc
	s_cbranch_execz .LBB0_17
; %bb.16:
	v_mul_f64 v[133:134], v[105:106], s[2:3]
	v_mul_f64 v[218:219], v[121:122], s[26:27]
	;; [unrolled: 1-line block ×7, first 2 shown]
	v_mov_b32_e32 v217, v192
	buffer_store_dword v133, off, s[44:47], 0 offset:40 ; 4-byte Folded Spill
	s_nop 0
	buffer_store_dword v134, off, s[44:47], 0 offset:44 ; 4-byte Folded Spill
	v_mul_f64 v[133:134], v[129:130], s[10:11]
	v_fma_f64 v[244:245], v[113:114], s[28:29], v[200:201]
	v_fma_f64 v[248:249], v[111:112], s[28:29], -v[236:237]
	v_fma_f64 v[252:253], v[119:120], s[18:19], v[242:243]
	v_fma_f64 v[200:201], v[113:114], s[28:29], -v[200:201]
	v_fma_f64 v[254:255], v[117:118], s[18:19], -v[246:247]
	v_mov_b32_e32 v192, v186
	v_mov_b32_e32 v214, v195
	buffer_store_dword v133, off, s[44:47], 0 offset:64 ; 4-byte Folded Spill
	s_nop 0
	buffer_store_dword v134, off, s[44:47], 0 offset:68 ; 4-byte Folded Spill
	v_mul_f64 v[133:134], v[111:112], s[18:19]
	v_mov_b32_e32 v195, v188
	v_mov_b32_e32 v186, v187
	v_fma_f64 v[187:188], v[127:128], s[2:3], v[250:251]
	v_fma_f64 v[242:243], v[119:120], s[18:19], -v[242:243]
	v_fma_f64 v[250:251], v[127:128], s[2:3], -v[250:251]
	v_mul_f64 v[210:211], v[129:130], s[16:17]
	v_add_f64 v[173:174], v[173:174], -v[218:219]
	buffer_store_dword v133, off, s[44:47], 0 offset:28 ; 4-byte Folded Spill
	s_nop 0
	buffer_store_dword v134, off, s[44:47], 0 offset:32 ; 4-byte Folded Spill
	v_mul_f64 v[133:134], v[121:122], s[22:23]
	v_mul_f64 v[234:235], v[143:144], s[30:31]
	;; [unrolled: 1-line block ×6, first 2 shown]
	v_add_f64 v[66:67], v[62:63], v[66:67]
	v_add_f64 v[64:65], v[60:61], v[64:65]
	buffer_store_dword v133, off, s[44:47], 0 offset:56 ; 4-byte Folded Spill
	s_nop 0
	buffer_store_dword v134, off, s[44:47], 0 offset:60 ; 4-byte Folded Spill
	v_mul_f64 v[133:134], v[111:112], s[20:21]
	v_add_f64 v[208:209], v[208:209], v[159:160]
	v_add_f64 v[175:176], v[175:176], -v[226:227]
	v_mul_f64 v[230:231], v[143:144], s[36:37]
	v_add_f64 v[169:170], v[224:225], v[169:170]
	v_add_f64 v[66:67], v[66:67], v[70:71]
	;; [unrolled: 1-line block ×3, first 2 shown]
	v_mul_f64 v[206:207], v[153:154], s[22:23]
	buffer_store_dword v133, off, s[44:47], 0 offset:72 ; 4-byte Folded Spill
	s_nop 0
	buffer_store_dword v134, off, s[44:47], 0 offset:76 ; 4-byte Folded Spill
	v_mul_f64 v[133:134], v[117:118], s[20:21]
	v_mul_f64 v[215:216], v[139:140], s[18:19]
	v_add_f64 v[165:166], v[165:166], -v[230:231]
	buffer_store_dword v133, off, s[44:47], 0 offset:4 ; 4-byte Folded Spill
	s_nop 0
	buffer_store_dword v134, off, s[44:47], 0 offset:8 ; 4-byte Folded Spill
	v_mul_f64 v[133:134], v[131:132], s[26:27]
	s_mov_b32 s27, 0xbfd207e7
	v_mul_f64 v[196:197], v[129:130], s[26:27]
	v_mul_f64 v[198:199], v[109:110], s[26:27]
	v_mul_f64 v[228:229], v[143:144], s[26:27]
	v_add_f64 v[66:67], v[66:67], v[78:79]
	v_add_f64 v[68:69], v[68:69], v[76:77]
	v_mul_f64 v[143:144], v[143:144], s[22:23]
	buffer_store_dword v133, off, s[44:47], 0 offset:48 ; 4-byte Folded Spill
	s_nop 0
	buffer_store_dword v134, off, s[44:47], 0 offset:52 ; 4-byte Folded Spill
	v_mul_f64 v[133:134], v[125:126], s[8:9]
	v_fma_f64 v[202:203], v[107:108], s[20:21], v[196:197]
	v_fma_f64 v[238:239], v[105:106], s[20:21], -v[198:199]
	v_fma_f64 v[196:197], v[107:108], s[20:21], -v[196:197]
	v_fma_f64 v[193:194], v[105:106], s[20:21], v[198:199]
	v_fma_f64 v[240:241], v[127:128], s[20:21], v[228:229]
	v_add_f64 v[66:67], v[66:67], v[82:83]
	v_add_f64 v[68:69], v[68:69], v[80:81]
	buffer_store_dword v133, off, s[44:47], 0 offset:12 ; 4-byte Folded Spill
	s_nop 0
	buffer_store_dword v134, off, s[44:47], 0 offset:16 ; 4-byte Folded Spill
	v_add_f64 v[202:203], v[62:63], v[202:203]
	v_add_f64 v[238:239], v[60:61], v[238:239]
	;; [unrolled: 1-line block ×3, first 2 shown]
	v_mul_f64 v[133:134], v[139:140], s[28:29]
	v_add_f64 v[193:194], v[60:61], v[193:194]
	v_mul_f64 v[80:81], v[109:110], s[30:31]
	v_add_f64 v[66:67], v[66:67], v[90:91]
	v_add_f64 v[68:69], v[68:69], v[88:89]
	;; [unrolled: 1-line block ×3, first 2 shown]
	v_mul_f64 v[244:245], v[135:136], s[34:35]
	v_add_f64 v[238:239], v[248:249], v[238:239]
	v_mul_f64 v[248:249], v[153:154], s[16:17]
	v_add_f64 v[196:197], v[200:201], v[196:197]
	buffer_store_dword v133, off, s[44:47], 0 offset:20 ; 4-byte Folded Spill
	s_nop 0
	buffer_store_dword v134, off, s[44:47], 0 offset:24 ; 4-byte Folded Spill
	buffer_store_dword v221, off, s[44:47], 0 offset:36 ; 4-byte Folded Spill
	v_mul_f64 v[133:134], v[153:154], s[34:35]
	v_add_f64 v[200:201], v[252:253], v[202:203]
	v_mul_f64 v[252:253], v[151:152], s[16:17]
	v_fma_f64 v[202:203], v[125:126], s[2:3], -v[244:245]
	v_add_f64 v[238:239], v[254:255], v[238:239]
	v_add_f64 v[196:197], v[242:243], v[196:197]
	v_fma_f64 v[242:243], v[137:138], s[8:9], v[248:249]
	v_fma_f64 v[248:249], v[137:138], s[8:9], -v[248:249]
	v_fma_f64 v[244:245], v[125:126], s[2:3], v[244:245]
	v_add_f64 v[187:188], v[187:188], v[200:201]
	v_fma_f64 v[200:201], v[139:140], s[8:9], -v[252:253]
	v_mul_f64 v[254:255], v[153:154], s[38:39]
	v_add_f64 v[202:203], v[202:203], v[238:239]
	v_mul_f64 v[238:239], v[129:130], s[22:23]
	v_add_f64 v[250:251], v[250:251], v[196:197]
	v_mul_f64 v[129:130], v[129:130], s[30:31]
	v_fma_f64 v[88:89], v[105:106], s[28:29], v[80:81]
	v_add_f64 v[198:199], v[242:243], v[187:188]
	v_fma_f64 v[187:188], v[111:112], s[28:29], v[236:237]
	v_mul_f64 v[236:237], v[121:122], s[36:37]
	v_add_f64 v[196:197], v[200:201], v[202:203]
	v_fma_f64 v[242:243], v[107:108], s[18:19], v[238:239]
	v_fma_f64 v[200:201], v[117:118], s[18:19], v[246:247]
	v_mul_f64 v[246:247], v[109:110], s[22:23]
	v_add_f64 v[202:203], v[248:249], v[250:251]
	v_mul_f64 v[248:249], v[131:132], s[30:31]
	v_add_f64 v[187:188], v[187:188], v[193:194]
	v_fma_f64 v[250:251], v[113:114], s[8:9], v[236:237]
	v_fma_f64 v[193:194], v[139:140], s[8:9], v[252:253]
	v_add_f64 v[242:243], v[62:63], v[242:243]
	v_mul_f64 v[252:253], v[115:116], s[36:37]
	v_fma_f64 v[220:221], v[105:106], s[18:19], -v[246:247]
	v_fma_f64 v[238:239], v[107:108], s[18:19], -v[238:239]
	v_fma_f64 v[222:223], v[119:120], s[28:29], v[248:249]
	v_add_f64 v[187:188], v[200:201], v[187:188]
	v_fma_f64 v[236:237], v[113:114], s[8:9], -v[236:237]
	v_fma_f64 v[248:249], v[119:120], s[28:29], -v[248:249]
	v_add_f64 v[242:243], v[250:251], v[242:243]
	v_mul_f64 v[250:251], v[123:124], s[30:31]
	v_fma_f64 v[200:201], v[111:112], s[8:9], -v[252:253]
	v_add_f64 v[220:221], v[60:61], v[220:221]
	v_add_f64 v[238:239], v[62:63], v[238:239]
	v_add_f64 v[187:188], v[244:245], v[187:188]
	v_fma_f64 v[218:219], v[111:112], s[8:9], v[252:253]
	v_mul_f64 v[121:122], v[121:122], s[10:11]
	v_add_f64 v[222:223], v[222:223], v[242:243]
	v_fma_f64 v[212:213], v[117:118], s[28:29], -v[250:251]
	v_mul_f64 v[242:243], v[135:136], s[26:27]
	v_add_f64 v[200:201], v[200:201], v[220:221]
	v_fma_f64 v[220:221], v[137:138], s[2:3], v[133:134]
	v_add_f64 v[236:237], v[236:237], v[238:239]
	v_fma_f64 v[133:134], v[137:138], s[2:3], -v[133:134]
	v_mul_f64 v[109:110], v[115:116], s[10:11]
	v_add_f64 v[222:223], v[240:241], v[222:223]
	v_mul_f64 v[240:241], v[151:152], s[34:35]
	v_fma_f64 v[244:245], v[125:126], s[20:21], -v[242:243]
	v_add_f64 v[212:213], v[212:213], v[200:201]
	v_add_f64 v[200:201], v[193:194], v[187:188]
	v_add_f64 v[187:188], v[161:162], -v[210:211]
	v_fma_f64 v[210:211], v[127:128], s[20:21], -v[228:229]
	v_fma_f64 v[80:81], v[105:106], s[28:29], -v[80:81]
	v_add_f64 v[161:162], v[220:221], v[222:223]
	v_add_f64 v[222:223], v[248:249], v[236:237]
	v_fma_f64 v[220:221], v[105:106], s[18:19], v[246:247]
	v_fma_f64 v[193:194], v[139:140], s[2:3], -v[240:241]
	v_add_f64 v[212:213], v[244:245], v[212:213]
	v_add_f64 v[187:188], v[62:63], v[187:188]
	v_mul_f64 v[131:132], v[131:132], s[16:17]
	v_fma_f64 v[70:71], v[113:114], s[2:3], v[121:122]
	v_mul_f64 v[90:91], v[123:124], s[16:17]
	v_add_f64 v[210:211], v[210:211], v[222:223]
	v_add_f64 v[220:221], v[60:61], v[220:221]
	;; [unrolled: 1-line block ×5, first 2 shown]
	buffer_load_dword v187, off, s[44:47], 0 offset:72 ; 4-byte Folded Reload
	buffer_load_dword v188, off, s[44:47], 0 offset:76 ; 4-byte Folded Reload
	v_add_f64 v[193:194], v[60:61], v[208:209]
	v_fma_f64 v[208:209], v[117:118], s[28:29], v[250:251]
	v_add_f64 v[68:69], v[68:69], v[84:85]
	v_add_f64 v[212:213], v[218:219], v[220:221]
	;; [unrolled: 1-line block ×3, first 2 shown]
	v_fma_f64 v[86:87], v[111:112], s[2:3], -v[109:110]
	v_add_f64 v[173:174], v[175:176], v[173:174]
	v_fma_f64 v[76:77], v[119:120], s[8:9], v[131:132]
	v_mul_f64 v[82:83], v[135:136], s[22:23]
	v_fma_f64 v[88:89], v[117:118], s[8:9], v[90:91]
	v_add_f64 v[66:67], v[66:67], v[94:95]
	v_fma_f64 v[90:91], v[117:118], s[8:9], -v[90:91]
	v_add_f64 v[68:69], v[68:69], v[92:93]
	v_fma_f64 v[105:106], v[113:114], s[2:3], -v[121:122]
	v_add_f64 v[183:184], v[183:184], -v[206:207]
	v_add_f64 v[66:67], v[66:67], v[74:75]
	v_fma_f64 v[74:75], v[125:126], s[18:19], -v[82:83]
	v_add_f64 v[68:69], v[68:69], v[72:73]
	v_add_f64 v[66:67], v[66:67], v[58:59]
	;; [unrolled: 1-line block ×5, first 2 shown]
	s_waitcnt vmcnt(0)
	v_add_f64 v[187:188], v[187:188], v[167:168]
	v_add_f64 v[167:168], v[133:134], v[210:211]
	v_add_f64 v[133:134], v[181:182], -v[234:235]
	buffer_load_dword v181, off, s[44:47], 0 offset:64 ; 4-byte Folded Reload
	buffer_load_dword v182, off, s[44:47], 0 offset:68 ; 4-byte Folded Reload
	v_add_f64 v[175:176], v[187:188], v[193:194]
	v_add_f64 v[187:188], v[208:209], v[212:213]
	buffer_load_dword v193, off, s[44:47], 0 offset:56 ; 4-byte Folded Reload
	buffer_load_dword v194, off, s[44:47], 0 offset:60 ; 4-byte Folded Reload
	v_add_f64 v[133:134], v[133:134], v[173:174]
	v_add_f64 v[173:174], v[232:233], v[177:178]
	;; [unrolled: 1-line block ×3, first 2 shown]
	v_fma_f64 v[175:176], v[139:140], s[2:3], v[240:241]
	s_waitcnt vmcnt(2)
	v_add_f64 v[149:150], v[149:150], -v[181:182]
	v_fma_f64 v[181:182], v[125:126], s[20:21], v[242:243]
	s_waitcnt vmcnt(0)
	v_add_f64 v[157:158], v[157:158], -v[193:194]
	v_add_f64 v[149:150], v[62:63], v[149:150]
	v_add_f64 v[177:178], v[181:182], v[187:188]
	buffer_load_dword v181, off, s[44:47], 0 offset:48 ; 4-byte Folded Reload
	buffer_load_dword v182, off, s[44:47], 0 offset:52 ; 4-byte Folded Reload
	v_mov_b32_e32 v187, v186
	v_mov_b32_e32 v188, v195
	;; [unrolled: 1-line block ×5, first 2 shown]
	v_add_f64 v[149:150], v[157:158], v[149:150]
	v_add_f64 v[157:158], v[173:174], v[169:170]
	s_waitcnt vmcnt(0)
	v_add_f64 v[163:164], v[163:164], -v[181:182]
	buffer_load_dword v181, off, s[44:47], 0 offset:40 ; 4-byte Folded Reload
	buffer_load_dword v182, off, s[44:47], 0 offset:44 ; 4-byte Folded Reload
	;; [unrolled: 1-line block ×10, first 2 shown]
	v_add_f64 v[149:150], v[163:164], v[149:150]
	v_add_f64 v[163:164], v[171:172], -v[254:255]
	v_fma_f64 v[171:172], v[107:108], s[28:29], v[129:130]
	v_fma_f64 v[107:108], v[107:108], s[28:29], -v[129:130]
	v_add_f64 v[149:150], v[165:166], v[149:150]
	v_add_f64 v[165:166], v[62:63], v[171:172]
	;; [unrolled: 1-line block ×3, first 2 shown]
	v_fma_f64 v[107:108], v[111:112], s[2:3], v[109:110]
	v_add_f64 v[70:71], v[70:71], v[165:166]
	v_add_f64 v[62:63], v[105:106], v[62:63]
	;; [unrolled: 1-line block ×5, first 2 shown]
	v_mul_f64 v[76:77], v[151:152], s[26:27]
	v_add_f64 v[72:73], v[88:89], v[84:85]
	v_fma_f64 v[84:85], v[139:140], s[20:21], v[76:77]
	v_fma_f64 v[76:77], v[139:140], s[20:21], -v[76:77]
	s_waitcnt vmcnt(8)
	v_add_f64 v[181:182], v[181:182], v[141:142]
	s_waitcnt vmcnt(6)
	v_add_f64 v[147:148], v[169:170], v[147:148]
	;; [unrolled: 2-line block ×4, first 2 shown]
	v_add_f64 v[64:65], v[163:164], v[149:150]
	v_fma_f64 v[149:150], v[127:128], s[18:19], v[143:144]
	s_waitcnt vmcnt(0)
	v_add_f64 v[78:79], v[78:79], v[155:156]
	v_add_f64 v[141:142], v[183:184], v[133:134]
	;; [unrolled: 1-line block ×4, first 2 shown]
	v_fma_f64 v[80:81], v[119:120], s[8:9], -v[131:132]
	v_add_f64 v[133:134], v[215:216], v[179:180]
	v_add_f64 v[70:71], v[149:150], v[70:71]
	;; [unrolled: 1-line block ×4, first 2 shown]
	v_fma_f64 v[86:87], v[127:128], s[18:19], -v[143:144]
	v_add_f64 v[62:63], v[80:81], v[62:63]
	v_fma_f64 v[80:81], v[125:126], s[18:19], v[82:83]
	v_add_f64 v[139:140], v[133:134], v[157:158]
	v_add_f64 v[147:148], v[173:174], v[147:148]
	;; [unrolled: 1-line block ×7, first 2 shown]
	v_mul_f64 v[147:148], v[153:154], s[26:27]
	v_add_f64 v[56:57], v[84:85], v[68:69]
	v_add_f64 v[66:67], v[76:77], v[60:61]
	buffer_load_dword v60, off, s[44:47], 0 ; 4-byte Folded Reload
	buffer_load_dword v61, off, s[44:47], 0 offset:36 ; 4-byte Folded Reload
	v_fma_f64 v[82:83], v[137:138], s[20:21], -v[147:148]
	v_fma_f64 v[72:73], v[137:138], s[20:21], v[147:148]
	v_add_f64 v[58:59], v[82:83], v[62:63]
	v_add_f64 v[62:63], v[78:79], v[145:146]
	;; [unrolled: 1-line block ×3, first 2 shown]
	s_waitcnt vmcnt(0)
	v_lshl_add_u32 v60, v61, 4, v60
	ds_write_b128 v60, v[0:3]
	ds_write_b128 v60, v[56:59] offset:16
	ds_write_b128 v60, v[62:65] offset:32
	;; [unrolled: 1-line block ×10, first 2 shown]
.LBB0_17:
	s_or_b64 exec, exec, s[24:25]
	s_waitcnt lgkmcnt(0)
	s_barrier
	ds_read_b128 v[56:59], v189
	ds_read_b128 v[60:63], v189 offset:352
	ds_read_b128 v[72:75], v189 offset:1584
	;; [unrolled: 1-line block ×7, first 2 shown]
	s_and_saveexec_b64 s[2:3], s[0:1]
	s_cbranch_execz .LBB0_19
; %bb.18:
	ds_read_b128 v[96:99], v189 offset:1408
	ds_read_b128 v[100:103], v189 offset:2992
.LBB0_19:
	s_or_b64 exec, exec, s[2:3]
	s_waitcnt lgkmcnt(5)
	v_mul_f64 v[84:85], v[14:15], v[74:75]
	v_mul_f64 v[14:15], v[14:15], v[72:73]
	s_waitcnt lgkmcnt(4)
	v_mul_f64 v[86:87], v[10:11], v[70:71]
	v_mul_f64 v[10:11], v[10:11], v[68:69]
	;; [unrolled: 3-line block ×4, first 2 shown]
	v_fma_f64 v[72:73], v[12:13], v[72:73], v[84:85]
	v_fma_f64 v[12:13], v[12:13], v[74:75], -v[14:15]
	v_fma_f64 v[14:15], v[8:9], v[68:69], v[86:87]
	v_fma_f64 v[68:69], v[8:9], v[70:71], -v[10:11]
	;; [unrolled: 2-line block ×4, first 2 shown]
	v_add_f64 v[8:9], v[56:57], -v[72:73]
	v_add_f64 v[10:11], v[58:59], -v[12:13]
	;; [unrolled: 1-line block ×8, first 2 shown]
	v_fma_f64 v[56:57], v[56:57], 2.0, -v[8:9]
	v_fma_f64 v[58:59], v[58:59], 2.0, -v[10:11]
	;; [unrolled: 1-line block ×8, first 2 shown]
	s_barrier
	ds_write_b128 v186, v[56:59]
	ds_write_b128 v186, v[8:11] offset:176
	ds_write_b128 v192, v[60:63]
	ds_write_b128 v192, v[12:15] offset:176
	;; [unrolled: 2-line block ×4, first 2 shown]
	s_and_saveexec_b64 s[2:3], s[0:1]
	s_cbranch_execz .LBB0_21
; %bb.20:
	buffer_load_dword v9, off, s[44:47], 0  ; 4-byte Folded Reload
	v_mul_f64 v[0:1], v[6:7], v[100:101]
	v_mul_f64 v[2:3], v[6:7], v[102:103]
	v_and_b32_e32 v8, 0xff, v185
	v_fma_f64 v[0:1], v[4:5], v[102:103], -v[0:1]
	v_fma_f64 v[4:5], v[4:5], v[100:101], v[2:3]
	v_add_f64 v[2:3], v[98:99], -v[0:1]
	v_add_f64 v[0:1], v[96:97], -v[4:5]
	v_fma_f64 v[6:7], v[98:99], 2.0, -v[2:3]
	v_fma_f64 v[4:5], v[96:97], 2.0, -v[0:1]
	s_waitcnt vmcnt(0)
	v_lshl_add_u32 v8, v8, 4, v9
	ds_write_b128 v8, v[4:7] offset:2816
	ds_write_b128 v8, v[0:3] offset:2992
.LBB0_21:
	s_or_b64 exec, exec, s[2:3]
	s_waitcnt lgkmcnt(0)
	s_barrier
	ds_read_b128 v[0:3], v189
	ds_read_b128 v[4:7], v189 offset:352
	ds_read_b128 v[8:11], v189 offset:704
	;; [unrolled: 1-line block ×5, first 2 shown]
	s_waitcnt lgkmcnt(4)
	v_mul_f64 v[68:69], v[38:39], v[6:7]
	v_mul_f64 v[38:39], v[38:39], v[4:5]
	s_waitcnt lgkmcnt(2)
	v_mul_f64 v[72:73], v[30:31], v[14:15]
	v_mul_f64 v[30:31], v[30:31], v[12:13]
	ds_read_b128 v[56:59], v189 offset:2112
	ds_read_b128 v[60:63], v189 offset:2464
	;; [unrolled: 1-line block ×3, first 2 shown]
	v_mul_f64 v[70:71], v[34:35], v[10:11]
	v_mul_f64 v[34:35], v[34:35], v[8:9]
	s_mov_b32 s3, 0x3fe491b7
	v_fma_f64 v[4:5], v[36:37], v[4:5], v[68:69]
	v_fma_f64 v[6:7], v[36:37], v[6:7], -v[38:39]
	s_waitcnt lgkmcnt(4)
	v_mul_f64 v[36:37], v[26:27], v[18:19]
	v_mul_f64 v[26:27], v[26:27], v[16:17]
	v_fma_f64 v[14:15], v[28:29], v[14:15], -v[30:31]
	s_waitcnt lgkmcnt(0)
	v_mul_f64 v[30:31], v[54:55], v[64:65]
	v_fma_f64 v[10:11], v[32:33], v[10:11], -v[34:35]
	v_fma_f64 v[12:13], v[28:29], v[12:13], v[72:73]
	v_mul_f64 v[28:29], v[54:55], v[66:67]
	v_mul_f64 v[34:35], v[46:47], v[20:21]
	v_fma_f64 v[8:9], v[32:33], v[8:9], v[70:71]
	v_fma_f64 v[18:19], v[24:25], v[18:19], -v[26:27]
	v_mul_f64 v[26:27], v[50:51], v[60:61]
	v_fma_f64 v[30:31], v[52:53], v[66:67], -v[30:31]
	v_fma_f64 v[16:17], v[24:25], v[16:17], v[36:37]
	v_mul_f64 v[24:25], v[50:51], v[62:63]
	v_mul_f64 v[32:33], v[46:47], v[22:23]
	v_fma_f64 v[28:29], v[52:53], v[64:65], v[28:29]
	v_mul_f64 v[38:39], v[42:43], v[56:57]
	v_fma_f64 v[22:23], v[44:45], v[22:23], -v[34:35]
	v_fma_f64 v[26:27], v[48:49], v[62:63], -v[26:27]
	v_add_f64 v[34:35], v[6:7], -v[30:31]
	s_mov_b32 s2, 0x523c161c
	v_mul_f64 v[36:37], v[42:43], v[58:59]
	v_fma_f64 v[24:25], v[48:49], v[60:61], v[24:25]
	v_fma_f64 v[20:21], v[44:45], v[20:21], v[32:33]
	v_add_f64 v[32:33], v[4:5], -v[28:29]
	v_fma_f64 v[38:39], v[40:41], v[58:59], -v[38:39]
	v_add_f64 v[42:43], v[10:11], -v[26:27]
	v_mul_f64 v[46:47], v[34:35], s[2:3]
	v_add_f64 v[28:29], v[4:5], v[28:29]
	s_mov_b32 s8, 0x8c811c17
	s_mov_b32 s10, 0xa2cf5039
	;; [unrolled: 1-line block ×4, first 2 shown]
	v_fma_f64 v[36:37], v[40:41], v[56:57], v[36:37]
	v_add_f64 v[40:41], v[8:9], -v[24:25]
	v_mul_f64 v[44:45], v[32:33], s[2:3]
	v_add_f64 v[30:31], v[6:7], v[30:31]
	v_add_f64 v[50:51], v[14:15], -v[38:39]
	v_fma_f64 v[6:7], v[42:43], s[8:9], v[46:47]
	v_add_f64 v[24:25], v[8:9], v[24:25]
	v_fma_f64 v[8:9], v[28:29], s[10:11], v[0:1]
	s_mov_b32 s0, 0xe8584cab
	s_mov_b32 s16, 0x7e0b738b
	;; [unrolled: 1-line block ×4, first 2 shown]
	v_add_f64 v[48:49], v[12:13], -v[36:37]
	v_fma_f64 v[4:5], v[40:41], s[8:9], v[44:45]
	v_add_f64 v[10:11], v[10:11], v[26:27]
	v_add_f64 v[26:27], v[12:13], v[36:37]
	;; [unrolled: 1-line block ×3, first 2 shown]
	v_fma_f64 v[6:7], v[50:51], s[0:1], v[6:7]
	v_fma_f64 v[12:13], v[30:31], s[10:11], v[2:3]
	v_add_f64 v[38:39], v[16:17], -v[20:21]
	v_add_f64 v[44:45], v[18:19], -v[22:23]
	v_add_f64 v[46:47], v[16:17], v[20:21]
	v_add_f64 v[52:53], v[18:19], v[22:23]
	v_fma_f64 v[8:9], v[24:25], s[16:17], v[8:9]
	s_mov_b32 s18, 0x748a0bf8
	s_mov_b32 s3, 0xbfe491b7
	;; [unrolled: 1-line block ×3, first 2 shown]
	v_fma_f64 v[12:13], v[10:11], s[16:17], v[12:13]
	v_mul_f64 v[14:15], v[38:39], s[2:3]
	v_mul_f64 v[54:55], v[44:45], s[2:3]
	v_fma_f64 v[56:57], v[46:47], s[10:11], v[0:1]
	v_fma_f64 v[58:59], v[52:53], s[10:11], v[2:3]
	v_fma_f64 v[60:61], v[44:45], s[18:19], v[6:7]
	v_fma_f64 v[6:7], v[26:27], -0.5, v[8:9]
	s_mov_b32 s22, 0x42522d1b
	s_mov_b32 s23, 0xbfee11f6
	v_fma_f64 v[4:5], v[48:49], s[0:1], v[4:5]
	v_fma_f64 v[8:9], v[36:37], -0.5, v[12:13]
	v_fma_f64 v[12:13], v[32:33], s[8:9], v[14:15]
	v_fma_f64 v[14:15], v[34:35], s[8:9], v[54:55]
	;; [unrolled: 1-line block ×5, first 2 shown]
	s_mov_b32 s21, 0xbfebb67a
	s_mov_b32 s20, s0
	v_fma_f64 v[58:59], v[38:39], s[18:19], v[4:5]
	v_fma_f64 v[12:13], v[48:49], s[20:21], v[12:13]
	;; [unrolled: 1-line block ×3, first 2 shown]
	v_fma_f64 v[54:55], v[26:27], -0.5, v[54:55]
	v_fma_f64 v[56:57], v[36:37], -0.5, v[56:57]
	v_fma_f64 v[8:9], v[52:53], s[22:23], v[8:9]
	v_add_f64 v[4:5], v[6:7], -v[60:61]
	v_fma_f64 v[66:67], v[10:11], s[10:11], v[2:3]
	v_add_f64 v[68:69], v[0:1], v[26:27]
	v_fma_f64 v[62:63], v[40:41], s[18:19], v[12:13]
	v_fma_f64 v[64:65], v[42:43], s[18:19], v[14:15]
	;; [unrolled: 1-line block ×4, first 2 shown]
	v_add_f64 v[54:55], v[38:39], v[32:33]
	v_add_f64 v[6:7], v[58:59], v[8:9]
	v_fma_f64 v[8:9], v[60:61], 2.0, v[4:5]
	v_add_f64 v[56:57], v[44:45], v[34:35]
	v_mul_f64 v[38:39], v[38:39], s[8:9]
	v_mul_f64 v[44:45], v[44:45], s[8:9]
	v_fma_f64 v[60:61], v[24:25], s[10:11], v[0:1]
	v_add_f64 v[24:25], v[24:25], v[28:29]
	v_add_f64 v[10:11], v[10:11], v[30:31]
	v_add_f64 v[54:55], v[54:55], -v[40:41]
	v_add_f64 v[12:13], v[12:13], -v[64:65]
	;; [unrolled: 1-line block ×3, first 2 shown]
	v_fma_f64 v[38:39], v[40:41], s[2:3], -v[38:39]
	v_fma_f64 v[40:41], v[42:43], s[2:3], -v[44:45]
	v_fma_f64 v[42:43], v[46:47], s[16:17], v[60:61]
	v_fma_f64 v[44:45], v[52:53], s[16:17], v[66:67]
	v_add_f64 v[66:67], v[26:27], v[24:25]
	v_add_f64 v[70:71], v[36:37], v[10:11]
	v_add_f64 v[60:61], v[2:3], v[36:37]
	v_add_f64 v[24:25], v[46:47], v[24:25]
	v_fma_f64 v[38:39], v[48:49], s[0:1], v[38:39]
	v_fma_f64 v[40:41], v[50:51], s[0:1], v[40:41]
	v_fma_f64 v[26:27], v[26:27], -0.5, v[42:43]
	v_fma_f64 v[36:37], v[36:37], -0.5, v[44:45]
	v_add_f64 v[10:11], v[52:53], v[10:11]
	v_add_f64 v[16:17], v[16:17], v[66:67]
	;; [unrolled: 1-line block ×3, first 2 shown]
	v_fma_f64 v[24:25], v[24:25], -0.5, v[68:69]
	v_fma_f64 v[38:39], v[32:33], s[18:19], v[38:39]
	v_fma_f64 v[32:33], v[34:35], s[18:19], v[40:41]
	;; [unrolled: 1-line block ×4, first 2 shown]
	v_fma_f64 v[10:11], v[10:11], -0.5, v[60:61]
	v_add_f64 v[30:31], v[20:21], v[16:17]
	v_add_f64 v[34:35], v[22:23], v[18:19]
	v_mul_f64 v[36:37], v[54:55], s[0:1]
	v_mul_f64 v[40:41], v[56:57], s[0:1]
	v_fma_f64 v[16:17], v[56:57], s[20:21], v[24:25]
	v_add_f64 v[20:21], v[26:27], -v[32:33]
	v_add_f64 v[22:23], v[38:39], v[28:29]
	v_fma_f64 v[18:19], v[54:55], s[0:1], v[10:11]
	v_add_f64 v[14:15], v[62:63], v[14:15]
	v_add_f64 v[0:1], v[0:1], v[30:31]
	;; [unrolled: 1-line block ×3, first 2 shown]
	v_fma_f64 v[24:25], v[64:65], 2.0, v[12:13]
	v_fma_f64 v[28:29], v[40:41], 2.0, v[16:17]
	;; [unrolled: 1-line block ×3, first 2 shown]
	v_fma_f64 v[34:35], v[38:39], -2.0, v[22:23]
	v_fma_f64 v[30:31], v[36:37], -2.0, v[18:19]
	;; [unrolled: 1-line block ×4, first 2 shown]
	ds_write_b128 v190, v[0:3]
	ds_write_b128 v190, v[4:7] offset:352
	ds_write_b128 v190, v[12:15] offset:704
	;; [unrolled: 1-line block ×8, first 2 shown]
	s_waitcnt lgkmcnt(0)
	s_barrier
	s_and_b64 exec, exec, vcc
	s_cbranch_execz .LBB0_23
; %bb.22:
	global_load_dwordx4 v[0:3], v195, s[14:15]
	global_load_dwordx4 v[4:7], v195, s[14:15] offset:288
	global_load_dwordx4 v[8:11], v195, s[14:15] offset:576
	;; [unrolled: 1-line block ×6, first 2 shown]
	ds_read_b128 v[28:31], v190
	ds_read_b128 v[32:35], v190 offset:288
	ds_read_b128 v[36:39], v190 offset:576
	;; [unrolled: 1-line block ×7, first 2 shown]
	global_load_dwordx4 v[60:63], v195, s[14:15] offset:2016
	global_load_dwordx4 v[64:67], v195, s[14:15] offset:2304
	;; [unrolled: 1-line block ×4, first 2 shown]
	v_mad_u64_u32 v[76:77], s[0:1], s6, v104, 0
	v_mad_u64_u32 v[78:79], s[2:3], s4, v188, 0
	s_mul_i32 s3, s5, 0x120
	s_mul_hi_u32 s6, s4, 0x120
	s_add_i32 s3, s6, s3
	v_mad_u64_u32 v[80:81], s[6:7], s7, v104, v[77:78]
	s_mul_i32 s2, s4, 0x120
	v_mov_b32_e32 v83, s13
	v_mad_u64_u32 v[81:82], s[4:5], s5, v188, v[79:80]
	v_mov_b32_e32 v77, v80
	v_lshlrev_b64 v[76:77], 4, v[76:77]
	v_mov_b32_e32 v79, v81
	v_lshlrev_b64 v[78:79], 4, v[78:79]
	v_add_co_u32_e32 v76, vcc, s12, v76
	v_addc_co_u32_e32 v77, vcc, v83, v77, vcc
	v_add_co_u32_e32 v76, vcc, v76, v78
	v_addc_co_u32_e32 v77, vcc, v77, v79, vcc
	v_mov_b32_e32 v84, s3
	v_add_co_u32_e32 v78, vcc, s2, v76
	v_addc_co_u32_e32 v79, vcc, v77, v84, vcc
	v_mov_b32_e32 v85, s3
	v_add_co_u32_e32 v80, vcc, s2, v78
	v_addc_co_u32_e32 v81, vcc, v79, v85, vcc
	v_mov_b32_e32 v86, s3
	v_add_co_u32_e32 v82, vcc, s2, v80
	v_addc_co_u32_e32 v83, vcc, v81, v86, vcc
	s_mov_b32 s0, 0xa052bf5b
	s_mov_b32 s1, 0x3f74afd6
	v_mov_b32_e32 v98, s3
	s_waitcnt vmcnt(10) lgkmcnt(7)
	v_mul_f64 v[84:85], v[30:31], v[2:3]
	v_mul_f64 v[2:3], v[28:29], v[2:3]
	s_waitcnt vmcnt(9) lgkmcnt(6)
	v_mul_f64 v[86:87], v[34:35], v[6:7]
	v_mul_f64 v[6:7], v[32:33], v[6:7]
	;; [unrolled: 3-line block ×6, first 2 shown]
	v_fma_f64 v[28:29], v[28:29], v[0:1], v[84:85]
	v_fma_f64 v[2:3], v[0:1], v[30:31], -v[2:3]
	v_fma_f64 v[30:31], v[32:33], v[4:5], v[86:87]
	v_fma_f64 v[6:7], v[4:5], v[34:35], -v[6:7]
	;; [unrolled: 2-line block ×4, first 2 shown]
	s_waitcnt vmcnt(4) lgkmcnt(1)
	v_mul_f64 v[96:97], v[54:55], v[26:27]
	v_fma_f64 v[36:37], v[44:45], v[16:17], v[92:93]
	v_fma_f64 v[18:19], v[16:17], v[46:47], -v[18:19]
	v_mul_f64 v[0:1], v[28:29], s[0:1]
	v_mul_f64 v[2:3], v[2:3], s[0:1]
	v_fma_f64 v[28:29], v[48:49], v[20:21], v[94:95]
	v_fma_f64 v[20:21], v[20:21], v[50:51], -v[22:23]
	v_mul_f64 v[4:5], v[30:31], s[0:1]
	v_mul_f64 v[6:7], v[6:7], s[0:1]
	;; [unrolled: 1-line block ×9, first 2 shown]
	global_store_dwordx4 v[76:77], v[0:3], off
	global_store_dwordx4 v[78:79], v[4:7], off
	;; [unrolled: 1-line block ×4, first 2 shown]
	v_mul_f64 v[0:1], v[28:29], s[0:1]
	v_mul_f64 v[2:3], v[20:21], s[0:1]
	v_fma_f64 v[6:7], v[52:53], v[24:25], v[96:97]
	v_add_co_u32_e32 v4, vcc, s2, v82
	v_addc_co_u32_e32 v5, vcc, v83, v98, vcc
	v_fma_f64 v[8:9], v[24:25], v[54:55], -v[26:27]
	s_waitcnt vmcnt(7) lgkmcnt(0)
	v_mul_f64 v[10:11], v[58:59], v[62:63]
	v_mul_f64 v[12:13], v[56:57], v[62:63]
	v_mov_b32_e32 v15, s3
	v_add_co_u32_e32 v14, vcc, s2, v4
	v_addc_co_u32_e32 v15, vcc, v5, v15, vcc
	global_store_dwordx4 v[4:5], v[16:19], off
	global_store_dwordx4 v[14:15], v[0:3], off
	v_fma_f64 v[16:17], v[56:57], v[60:61], v[10:11]
	v_mul_f64 v[0:1], v[6:7], s[0:1]
	ds_read_b128 v[4:7], v190 offset:2304
	v_mul_f64 v[2:3], v[8:9], s[0:1]
	ds_read_b128 v[8:11], v190 offset:2592
	v_fma_f64 v[12:13], v[60:61], v[58:59], -v[12:13]
	v_mov_b32_e32 v22, s3
	s_waitcnt vmcnt(8) lgkmcnt(1)
	v_mul_f64 v[18:19], v[6:7], v[66:67]
	v_mul_f64 v[20:21], v[4:5], v[66:67]
	v_add_co_u32_e32 v14, vcc, s2, v14
	v_addc_co_u32_e32 v15, vcc, v15, v22, vcc
	global_store_dwordx4 v[14:15], v[0:3], off
	v_add_co_u32_e32 v14, vcc, s2, v14
	v_mul_f64 v[0:1], v[16:17], s[0:1]
	v_mul_f64 v[2:3], v[12:13], s[0:1]
	v_fma_f64 v[12:13], v[4:5], v[64:65], v[18:19]
	v_fma_f64 v[16:17], v[64:65], v[6:7], -v[20:21]
	ds_read_b128 v[4:7], v190 offset:2880
	s_waitcnt vmcnt(8) lgkmcnt(1)
	v_mul_f64 v[18:19], v[10:11], v[70:71]
	v_mul_f64 v[20:21], v[8:9], v[70:71]
	v_addc_co_u32_e32 v15, vcc, v15, v22, vcc
	s_waitcnt vmcnt(7) lgkmcnt(0)
	v_mul_f64 v[22:23], v[6:7], v[74:75]
	v_mul_f64 v[24:25], v[4:5], v[74:75]
	global_store_dwordx4 v[14:15], v[0:3], off
	v_fma_f64 v[8:9], v[8:9], v[68:69], v[18:19]
	v_mul_f64 v[0:1], v[12:13], s[0:1]
	v_mul_f64 v[2:3], v[16:17], s[0:1]
	v_fma_f64 v[10:11], v[68:69], v[10:11], -v[20:21]
	v_fma_f64 v[4:5], v[4:5], v[72:73], v[22:23]
	v_fma_f64 v[6:7], v[72:73], v[6:7], -v[24:25]
	v_mov_b32_e32 v13, s3
	v_add_co_u32_e32 v12, vcc, s2, v14
	v_addc_co_u32_e32 v13, vcc, v15, v13, vcc
	global_store_dwordx4 v[12:13], v[0:3], off
	v_mul_f64 v[4:5], v[4:5], s[0:1]
	v_mul_f64 v[0:1], v[8:9], s[0:1]
	v_mul_f64 v[2:3], v[10:11], s[0:1]
	v_mul_f64 v[6:7], v[6:7], s[0:1]
	v_mov_b32_e32 v9, s3
	v_add_co_u32_e32 v8, vcc, s2, v12
	v_addc_co_u32_e32 v9, vcc, v13, v9, vcc
	global_store_dwordx4 v[8:9], v[0:3], off
	s_nop 0
	v_mov_b32_e32 v1, s3
	v_add_co_u32_e32 v0, vcc, s2, v8
	v_addc_co_u32_e32 v1, vcc, v9, v1, vcc
	global_store_dwordx4 v[0:1], v[4:7], off
.LBB0_23:
	s_endpgm
	.section	.rodata,"a",@progbits
	.p2align	6, 0x0
	.amdhsa_kernel bluestein_single_back_len198_dim1_dp_op_CI_CI
		.amdhsa_group_segment_fixed_size 15840
		.amdhsa_private_segment_fixed_size 84
		.amdhsa_kernarg_size 104
		.amdhsa_user_sgpr_count 6
		.amdhsa_user_sgpr_private_segment_buffer 1
		.amdhsa_user_sgpr_dispatch_ptr 0
		.amdhsa_user_sgpr_queue_ptr 0
		.amdhsa_user_sgpr_kernarg_segment_ptr 1
		.amdhsa_user_sgpr_dispatch_id 0
		.amdhsa_user_sgpr_flat_scratch_init 0
		.amdhsa_user_sgpr_private_segment_size 0
		.amdhsa_uses_dynamic_stack 0
		.amdhsa_system_sgpr_private_segment_wavefront_offset 1
		.amdhsa_system_sgpr_workgroup_id_x 1
		.amdhsa_system_sgpr_workgroup_id_y 0
		.amdhsa_system_sgpr_workgroup_id_z 0
		.amdhsa_system_sgpr_workgroup_info 0
		.amdhsa_system_vgpr_workitem_id 0
		.amdhsa_next_free_vgpr 256
		.amdhsa_next_free_sgpr 48
		.amdhsa_reserve_vcc 1
		.amdhsa_reserve_flat_scratch 0
		.amdhsa_float_round_mode_32 0
		.amdhsa_float_round_mode_16_64 0
		.amdhsa_float_denorm_mode_32 3
		.amdhsa_float_denorm_mode_16_64 3
		.amdhsa_dx10_clamp 1
		.amdhsa_ieee_mode 1
		.amdhsa_fp16_overflow 0
		.amdhsa_exception_fp_ieee_invalid_op 0
		.amdhsa_exception_fp_denorm_src 0
		.amdhsa_exception_fp_ieee_div_zero 0
		.amdhsa_exception_fp_ieee_overflow 0
		.amdhsa_exception_fp_ieee_underflow 0
		.amdhsa_exception_fp_ieee_inexact 0
		.amdhsa_exception_int_div_zero 0
	.end_amdhsa_kernel
	.text
.Lfunc_end0:
	.size	bluestein_single_back_len198_dim1_dp_op_CI_CI, .Lfunc_end0-bluestein_single_back_len198_dim1_dp_op_CI_CI
                                        ; -- End function
	.section	.AMDGPU.csdata,"",@progbits
; Kernel info:
; codeLenInByte = 13716
; NumSgprs: 52
; NumVgprs: 256
; ScratchSize: 84
; MemoryBound: 0
; FloatMode: 240
; IeeeMode: 1
; LDSByteSize: 15840 bytes/workgroup (compile time only)
; SGPRBlocks: 6
; VGPRBlocks: 63
; NumSGPRsForWavesPerEU: 52
; NumVGPRsForWavesPerEU: 256
; Occupancy: 1
; WaveLimiterHint : 1
; COMPUTE_PGM_RSRC2:SCRATCH_EN: 1
; COMPUTE_PGM_RSRC2:USER_SGPR: 6
; COMPUTE_PGM_RSRC2:TRAP_HANDLER: 0
; COMPUTE_PGM_RSRC2:TGID_X_EN: 1
; COMPUTE_PGM_RSRC2:TGID_Y_EN: 0
; COMPUTE_PGM_RSRC2:TGID_Z_EN: 0
; COMPUTE_PGM_RSRC2:TIDIG_COMP_CNT: 0
	.type	__hip_cuid_fcd4c879d647ee4,@object ; @__hip_cuid_fcd4c879d647ee4
	.section	.bss,"aw",@nobits
	.globl	__hip_cuid_fcd4c879d647ee4
__hip_cuid_fcd4c879d647ee4:
	.byte	0                               ; 0x0
	.size	__hip_cuid_fcd4c879d647ee4, 1

	.ident	"AMD clang version 19.0.0git (https://github.com/RadeonOpenCompute/llvm-project roc-6.4.0 25133 c7fe45cf4b819c5991fe208aaa96edf142730f1d)"
	.section	".note.GNU-stack","",@progbits
	.addrsig
	.addrsig_sym __hip_cuid_fcd4c879d647ee4
	.amdgpu_metadata
---
amdhsa.kernels:
  - .args:
      - .actual_access:  read_only
        .address_space:  global
        .offset:         0
        .size:           8
        .value_kind:     global_buffer
      - .actual_access:  read_only
        .address_space:  global
        .offset:         8
        .size:           8
        .value_kind:     global_buffer
      - .actual_access:  read_only
        .address_space:  global
        .offset:         16
        .size:           8
        .value_kind:     global_buffer
      - .actual_access:  read_only
        .address_space:  global
        .offset:         24
        .size:           8
        .value_kind:     global_buffer
      - .actual_access:  read_only
        .address_space:  global
        .offset:         32
        .size:           8
        .value_kind:     global_buffer
      - .offset:         40
        .size:           8
        .value_kind:     by_value
      - .address_space:  global
        .offset:         48
        .size:           8
        .value_kind:     global_buffer
      - .address_space:  global
        .offset:         56
        .size:           8
        .value_kind:     global_buffer
      - .address_space:  global
        .offset:         64
        .size:           8
        .value_kind:     global_buffer
      - .address_space:  global
        .offset:         72
        .size:           8
        .value_kind:     global_buffer
      - .offset:         80
        .size:           4
        .value_kind:     by_value
      - .address_space:  global
        .offset:         88
        .size:           8
        .value_kind:     global_buffer
      - .address_space:  global
        .offset:         96
        .size:           8
        .value_kind:     global_buffer
    .group_segment_fixed_size: 15840
    .kernarg_segment_align: 8
    .kernarg_segment_size: 104
    .language:       OpenCL C
    .language_version:
      - 2
      - 0
    .max_flat_workgroup_size: 110
    .name:           bluestein_single_back_len198_dim1_dp_op_CI_CI
    .private_segment_fixed_size: 84
    .sgpr_count:     52
    .sgpr_spill_count: 0
    .symbol:         bluestein_single_back_len198_dim1_dp_op_CI_CI.kd
    .uniform_work_group_size: 1
    .uses_dynamic_stack: false
    .vgpr_count:     256
    .vgpr_spill_count: 20
    .wavefront_size: 64
amdhsa.target:   amdgcn-amd-amdhsa--gfx906
amdhsa.version:
  - 1
  - 2
...

	.end_amdgpu_metadata
